;; amdgpu-corpus repo=ROCm/rocFFT kind=compiled arch=gfx1201 opt=O3
	.text
	.amdgcn_target "amdgcn-amd-amdhsa--gfx1201"
	.amdhsa_code_object_version 6
	.protected	bluestein_single_fwd_len1632_dim1_half_op_CI_CI ; -- Begin function bluestein_single_fwd_len1632_dim1_half_op_CI_CI
	.globl	bluestein_single_fwd_len1632_dim1_half_op_CI_CI
	.p2align	8
	.type	bluestein_single_fwd_len1632_dim1_half_op_CI_CI,@function
bluestein_single_fwd_len1632_dim1_half_op_CI_CI: ; @bluestein_single_fwd_len1632_dim1_half_op_CI_CI
; %bb.0:
	s_load_b128 s[4:7], s[0:1], 0x28
	v_mul_u32_u24_e32 v1, 0x283, v0
	s_mov_b32 s2, exec_lo
	v_mov_b32_e32 v243, 0
	s_delay_alu instid0(VALU_DEP_2) | instskip(NEXT) | instid1(VALU_DEP_1)
	v_lshrrev_b32_e32 v1, 16, v1
	v_add_nc_u32_e32 v242, ttmp9, v1
	s_wait_kmcnt 0x0
	s_delay_alu instid0(VALU_DEP_1)
	v_cmpx_gt_u64_e64 s[4:5], v[242:243]
	s_cbranch_execz .LBB0_23
; %bb.1:
	v_mul_lo_u16 v1, 0x66, v1
	s_clause 0x1
	s_load_b64 s[12:13], s[0:1], 0x0
	s_load_b64 s[14:15], s[0:1], 0x38
	s_delay_alu instid0(VALU_DEP_1) | instskip(NEXT) | instid1(VALU_DEP_1)
	v_sub_nc_u16 v0, v0, v1
	v_and_b32_e32 v48, 0xffff, v0
	v_cmp_gt_u16_e32 vcc_lo, 0x60, v0
	s_delay_alu instid0(VALU_DEP_2)
	v_lshlrev_b32_e32 v44, 2, v48
	v_or_b32_e32 v241, 0x180, v48
	v_or_b32_e32 v240, 0x300, v48
	;; [unrolled: 1-line block ×4, first 2 shown]
	s_and_saveexec_b32 s3, vcc_lo
	s_cbranch_execz .LBB0_3
; %bb.2:
	s_load_b64 s[4:5], s[0:1], 0x18
	v_add_nc_u32_e32 v37, 0x800, v44
	v_add_nc_u32_e32 v39, 0xe00, v44
	;; [unrolled: 1-line block ×5, first 2 shown]
	s_wait_kmcnt 0x0
	s_load_b128 s[8:11], s[4:5], 0x0
	s_clause 0x10
	global_load_b32 v20, v44, s[12:13]
	global_load_b32 v21, v44, s[12:13] offset:384
	global_load_b32 v22, v44, s[12:13] offset:768
	;; [unrolled: 1-line block ×16, first 2 shown]
	s_wait_kmcnt 0x0
	v_mad_co_u64_u32 v[0:1], null, s10, v242, 0
	v_mad_co_u64_u32 v[2:3], null, s8, v48, 0
	v_mad_co_u64_u32 v[4:5], null, s8, v241, 0
	v_mad_co_u64_u32 v[6:7], null, s8, v240, 0
	v_mad_co_u64_u32 v[8:9], null, s8, v239, 0
	v_mad_co_u64_u32 v[10:11], null, s8, v238, 0
	v_mad_co_u64_u32 v[12:13], null, s11, v242, v[1:2]
	v_mad_co_u64_u32 v[15:16], null, s9, v48, v[3:4]
	s_delay_alu instid0(VALU_DEP_4) | instskip(NEXT) | instid1(VALU_DEP_4)
	v_mad_co_u64_u32 v[16:17], null, s9, v240, v[7:8]
	v_mad_co_u64_u32 v[17:18], null, s9, v239, v[9:10]
	s_delay_alu instid0(VALU_DEP_4) | instskip(SKIP_3) | instid1(VALU_DEP_4)
	v_mov_b32_e32 v1, v12
	v_mad_co_u64_u32 v[18:19], null, s9, v238, v[11:12]
	v_mov_b32_e32 v3, v15
	v_mov_b32_e32 v7, v16
	v_lshlrev_b64_e32 v[0:1], 2, v[0:1]
	v_mov_b32_e32 v9, v17
	v_mad_co_u64_u32 v[12:13], null, s9, v241, v[5:6]
	v_lshlrev_b64_e32 v[2:3], 2, v[2:3]
	v_lshlrev_b64_e32 v[5:6], 2, v[6:7]
	s_delay_alu instid0(VALU_DEP_4) | instskip(SKIP_1) | instid1(VALU_DEP_1)
	v_lshlrev_b64_e32 v[7:8], 2, v[8:9]
	v_add_co_u32 v9, s2, s6, v0
	v_add_co_ci_u32_e64 v13, s2, s7, v1, s2
	v_mov_b32_e32 v11, v18
	s_delay_alu instid0(VALU_DEP_3) | instskip(SKIP_1) | instid1(VALU_DEP_3)
	v_add_co_u32 v2, s2, v9, v2
	s_wait_alu 0xf1ff
	v_add_co_ci_u32_e64 v3, s2, v13, v3, s2
	s_delay_alu instid0(VALU_DEP_3)
	v_lshlrev_b64_e32 v[0:1], 2, v[10:11]
	v_add_co_u32 v5, s2, v9, v5
	s_wait_alu 0xf1ff
	v_add_co_ci_u32_e64 v6, s2, v13, v6, s2
	v_add_co_u32 v7, s2, v9, v7
	s_wait_alu 0xf1ff
	v_add_co_ci_u32_e64 v8, s2, v13, v8, s2
	v_add_co_u32 v0, s2, v9, v0
	s_mul_u64 s[4:5], s[8:9], 0x180
	v_add_co_ci_u32_e64 v1, s2, v13, v1, s2
	s_clause 0x2
	global_load_b32 v10, v[2:3], off
	global_load_b32 v6, v[5:6], off
	;; [unrolled: 1-line block ×3, first 2 shown]
	s_wait_alu 0xfffe
	v_add_co_u32 v2, s2, v2, s4
	s_wait_alu 0xf1ff
	v_add_co_ci_u32_e64 v3, s2, s5, v3, s2
	v_mov_b32_e32 v5, v12
	global_load_b32 v8, v[0:1], off
	s_mul_u64 s[6:7], s[8:9], 0x300
	global_load_b32 v11, v[2:3], off
	v_add_co_u32 v0, s2, v2, s4
	s_wait_alu 0xf1ff
	v_add_co_ci_u32_e64 v1, s2, s5, v3, s2
	v_lshlrev_b64_e32 v[2:3], 2, v[4:5]
	global_load_b32 v4, v[0:1], off
	v_add_co_u32 v0, s2, v0, s4
	s_wait_alu 0xf1ff
	v_add_co_ci_u32_e64 v1, s2, s5, v1, s2
	v_add_co_u32 v2, s2, v9, v2
	s_wait_alu 0xf1ff
	v_add_co_ci_u32_e64 v3, s2, v13, v3, s2
	s_clause 0x1
	global_load_b32 v5, v[0:1], off
	global_load_b32 v9, v[2:3], off
	s_wait_alu 0xfffe
	v_add_co_u32 v0, s2, v0, s6
	s_wait_alu 0xf1ff
	v_add_co_ci_u32_e64 v1, s2, s7, v1, s2
	global_load_b32 v12, v[0:1], off
	v_add_co_u32 v0, s2, v0, s4
	s_wait_alu 0xf1ff
	v_add_co_ci_u32_e64 v1, s2, s5, v1, s2
	s_delay_alu instid0(VALU_DEP_2) | instskip(SKIP_1) | instid1(VALU_DEP_2)
	v_add_co_u32 v2, s2, v0, s4
	s_wait_alu 0xf1ff
	v_add_co_ci_u32_e64 v3, s2, s5, v1, s2
	global_load_b32 v13, v[0:1], off
	global_load_b32 v15, v[2:3], off
	v_add_co_u32 v0, s2, v2, s6
	s_wait_alu 0xf1ff
	v_add_co_ci_u32_e64 v1, s2, s7, v3, s2
	s_delay_alu instid0(VALU_DEP_2) | instskip(SKIP_1) | instid1(VALU_DEP_2)
	v_add_co_u32 v2, s2, v0, s4
	s_wait_alu 0xf1ff
	v_add_co_ci_u32_e64 v3, s2, s5, v1, s2
	global_load_b32 v16, v[0:1], off
	v_add_co_u32 v0, s2, v2, s4
	s_wait_alu 0xf1ff
	v_add_co_ci_u32_e64 v1, s2, s5, v3, s2
	global_load_b32 v17, v[2:3], off
	;; [unrolled: 4-line block ×5, first 2 shown]
	global_load_b32 v1, v[2:3], off
	v_add_nc_u32_e32 v2, 0x200, v44
	v_add_nc_u32_e32 v3, 0x400, v44
	s_wait_loadcnt 0x21
	v_lshrrev_b32_e32 v42, 16, v20
	s_wait_loadcnt 0x20
	v_lshrrev_b32_e32 v49, 16, v21
	;; [unrolled: 2-line block ×18, first 2 shown]
	v_mul_f16_e32 v66, v42, v10
	s_wait_loadcnt 0xf
	v_lshrrev_b32_e32 v67, 16, v6
	s_wait_loadcnt 0xe
	v_lshrrev_b32_e32 v69, 16, v7
	v_mul_f16_e32 v68, v56, v6
	v_mul_f16_e32 v42, v42, v65
	v_fma_f16 v65, v20, v65, -v66
	v_mul_f16_e32 v70, v60, v7
	s_wait_loadcnt 0xd
	v_lshrrev_b32_e32 v71, 16, v8
	v_mul_f16_e32 v56, v56, v67
	s_wait_loadcnt 0xc
	v_lshrrev_b32_e32 v66, 16, v11
	v_mul_f16_e32 v73, v49, v11
	v_mul_f16_e32 v60, v60, v69
	v_fmac_f16_e32 v42, v20, v10
	v_mul_f16_e32 v72, v64, v8
	v_mul_f16_e32 v10, v49, v66
	v_fma_f16 v67, v28, v67, -v68
	v_mul_f16_e32 v64, v64, v71
	s_wait_loadcnt 0xb
	v_lshrrev_b32_e32 v49, 16, v4
	v_fma_f16 v20, v21, v66, -v73
	v_mul_f16_e32 v66, v50, v4
	v_fmac_f16_e32 v56, v28, v6
	v_fmac_f16_e32 v60, v32, v7
	;; [unrolled: 1-line block ×3, first 2 shown]
	v_mul_f16_e32 v7, v50, v49
	v_fma_f16 v68, v32, v69, -v70
	v_fmac_f16_e32 v64, v36, v8
	s_wait_loadcnt 0xa
	v_lshrrev_b32_e32 v11, 16, v5
	v_pack_b32_f16 v6, v42, v65
	v_fma_f16 v8, v22, v49, -v66
	s_wait_loadcnt 0x9
	v_lshrrev_b32_e32 v28, 16, v9
	v_mul_f16_e32 v21, v51, v5
	v_mul_f16_e32 v32, v52, v9
	v_pack_b32_f16 v10, v10, v20
	v_fmac_f16_e32 v7, v22, v4
	v_mul_f16_e32 v4, v51, v11
	v_mul_f16_e32 v20, v52, v28
	v_fma_f16 v11, v23, v11, -v21
	s_wait_loadcnt 0x8
	v_lshrrev_b32_e32 v22, 16, v12
	v_fma_f16 v21, v24, v28, -v32
	v_mul_f16_e32 v28, v53, v12
	ds_store_2addr_b32 v44, v6, v10 offset1:96
	v_pack_b32_f16 v6, v7, v8
	v_fmac_f16_e32 v4, v23, v5
	v_fmac_f16_e32 v20, v24, v9
	v_mul_f16_e32 v5, v53, v22
	v_fma_f16 v7, v25, v22, -v28
	v_fma_f16 v69, v36, v71, -v72
	v_pack_b32_f16 v4, v4, v11
	s_wait_loadcnt 0x7
	v_lshrrev_b32_e32 v8, 16, v13
	v_mul_f16_e32 v9, v54, v13
	v_fmac_f16_e32 v5, v25, v12
	v_pack_b32_f16 v10, v20, v21
	s_wait_loadcnt 0x6
	v_mul_f16_e32 v12, v55, v15
	v_mul_f16_e32 v11, v54, v8
	v_fma_f16 v8, v26, v8, -v9
	v_lshrrev_b32_e32 v9, 16, v15
	ds_store_2addr_b32 v2, v6, v4 offset0:64 offset1:160
	v_pack_b32_f16 v2, v5, v7
	v_fmac_f16_e32 v11, v26, v13
	s_wait_loadcnt 0x5
	v_lshrrev_b32_e32 v6, 16, v16
	v_mul_f16_e32 v4, v55, v9
	v_mul_f16_e32 v7, v57, v16
	v_fma_f16 v5, v27, v9, -v12
	ds_store_2addr_b32 v3, v10, v2 offset0:128 offset1:224
	v_pack_b32_f16 v2, v11, v8
	v_fmac_f16_e32 v4, v27, v15
	v_mul_f16_e32 v3, v57, v6
	v_fma_f16 v6, v29, v6, -v7
	s_wait_loadcnt 0x4
	v_lshrrev_b32_e32 v7, 16, v17
	v_mul_f16_e32 v8, v58, v17
	v_pack_b32_f16 v4, v4, v5
	v_fmac_f16_e32 v3, v29, v16
	s_wait_loadcnt 0x3
	v_lshrrev_b32_e32 v5, 16, v18
	v_mul_f16_e32 v9, v58, v7
	v_fma_f16 v7, v30, v7, -v8
	v_mul_f16_e32 v8, v59, v18
	s_wait_loadcnt 0x2
	v_lshrrev_b32_e32 v10, 16, v19
	v_pack_b32_f16 v3, v3, v6
	v_mul_f16_e32 v6, v59, v5
	v_fmac_f16_e32 v9, v30, v17
	v_fma_f16 v5, v31, v5, -v8
	v_mul_f16_e32 v8, v61, v19
	s_wait_loadcnt 0x1
	v_lshrrev_b32_e32 v11, 16, v0
	s_wait_loadcnt 0x0
	v_lshrrev_b32_e32 v13, 16, v1
	v_mul_f16_e32 v12, v61, v10
	v_mul_f16_e32 v16, v63, v1
	v_fma_f16 v8, v33, v10, -v8
	v_mul_f16_e32 v10, v62, v0
	v_mul_f16_e32 v15, v62, v11
	;; [unrolled: 1-line block ×3, first 2 shown]
	v_fmac_f16_e32 v6, v31, v18
	v_fmac_f16_e32 v12, v33, v19
	v_fma_f16 v10, v34, v11, -v10
	v_fmac_f16_e32 v15, v34, v0
	v_fma_f16 v0, v35, v13, -v16
	v_fmac_f16_e32 v17, v35, v1
	v_pack_b32_f16 v36, v56, v67
	v_pack_b32_f16 v1, v9, v7
	;; [unrolled: 1-line block ×8, first 2 shown]
	ds_store_2addr_b32 v37, v2, v4 offset0:64 offset1:160
	ds_store_2addr_b32 v38, v36, v3 offset1:96
	ds_store_2addr_b32 v39, v1, v5 offset0:64 offset1:160
	ds_store_2addr_b32 v40, v42, v6 offset0:128 offset1:224
	;; [unrolled: 1-line block ×3, first 2 shown]
	ds_store_b32 v44, v49 offset:6144
.LBB0_3:
	s_or_b32 exec_lo, exec_lo, s3
	s_clause 0x1
	s_load_b64 s[4:5], s[0:1], 0x20
	s_load_b64 s[2:3], s[0:1], 0x8
	v_mov_b32_e32 v8, 0
                                        ; kill: def $vgpr0 killed $sgpr0 killed $exec
	global_wb scope:SCOPE_SE
	s_wait_dscnt 0x0
	s_wait_kmcnt 0x0
	s_barrier_signal -1
	s_barrier_wait -1
	global_inv scope:SCOPE_SE
                                        ; implicit-def: $vgpr17
                                        ; implicit-def: $vgpr1
                                        ; implicit-def: $vgpr3
                                        ; implicit-def: $vgpr5
                                        ; implicit-def: $vgpr7
                                        ; implicit-def: $vgpr11
                                        ; implicit-def: $vgpr13
                                        ; implicit-def: $vgpr16
                                        ; implicit-def: $vgpr67
	s_and_saveexec_b32 s0, vcc_lo
	s_cbranch_execz .LBB0_5
; %bb.4:
	v_add_nc_u32_e32 v0, 0x200, v44
	v_add_nc_u32_e32 v1, 0x400, v44
	;; [unrolled: 1-line block ×3, first 2 shown]
	ds_load_2addr_b32 v[8:9], v44 offset1:96
	v_add_nc_u32_e32 v3, 0x1000, v44
	ds_load_2addr_b32 v[15:16], v0 offset0:64 offset1:160
	ds_load_2addr_b32 v[12:13], v1 offset0:128 offset1:224
	v_add_nc_u32_e32 v0, 0xc00, v44
	v_add_nc_u32_e32 v1, 0xe00, v44
	;; [unrolled: 1-line block ×3, first 2 shown]
	ds_load_2addr_b32 v[10:11], v2 offset0:64 offset1:160
	ds_load_2addr_b32 v[6:7], v0 offset1:96
	ds_load_2addr_b32 v[4:5], v1 offset0:64 offset1:160
	ds_load_2addr_b32 v[2:3], v3 offset0:128 offset1:224
	;; [unrolled: 1-line block ×3, first 2 shown]
	ds_load_b32 v17, v44 offset:6144
	s_wait_dscnt 0x7
	v_alignbit_b32 v67, v15, v15, 16
.LBB0_5:
	s_wait_alu 0xfffe
	s_or_b32 exec_lo, exec_lo, s0
	s_wait_dscnt 0x0
	v_pk_add_f16 v15, v9, v17 neg_lo:[0,1] neg_hi:[0,1]
	v_pk_add_f16 v23, v67, v1 op_sel:[1,0] op_sel_hi:[0,1] neg_lo:[0,1] neg_hi:[0,1]
	v_pk_add_f16 v22, v17, v9
	v_pk_add_f16 v18, v1, v67 op_sel:[1,0] op_sel_hi:[0,1]
	v_pk_add_f16 v19, v16, v0 neg_lo:[0,1] neg_hi:[0,1]
	v_lshrrev_b32_e32 v87, 16, v15
	v_lshrrev_b32_e32 v80, 16, v23
	;; [unrolled: 1-line block ×3, first 2 shown]
	v_mul_f16_e32 v53, 0xb5c8, v15
	v_lshrrev_b32_e32 v59, 16, v18
	v_mul_f16_e32 v88, 0xb5c8, v87
	v_mul_f16_e32 v36, 0xb964, v80
	v_lshrrev_b32_e32 v81, 16, v19
	v_lshrrev_b32_e32 v38, 16, v8
	v_pk_add_f16 v21, v0, v16
	v_fmamk_f16 v24, v22, 0x3b76, v88
	v_mul_f16_e32 v50, 0xb964, v23
	v_fma_f16 v25, v60, 0x3b76, -v53
	v_fmamk_f16 v26, v59, 0x39e9, v36
	v_mul_f16_e32 v35, 0xbb29, v81
	v_add_f16_e32 v24, v24, v8
	v_pk_add_f16 v20, v12, v3 neg_lo:[0,1] neg_hi:[0,1]
	v_fma_f16 v27, v18, 0x39e9, -v50
	v_add_f16_e32 v25, v25, v38
	v_lshrrev_b32_e32 v61, 16, v21
	v_add_f16_e32 v24, v26, v24
	v_fmamk_f16 v26, v21, 0x3722, v35
	v_mul_f16_e32 v51, 0xbb29, v19
	v_add_f16_e32 v27, v27, v25
	v_lshrrev_b32_e32 v83, 16, v20
	v_pk_add_f16 v25, v3, v12
	v_add_f16_e32 v28, v26, v24
	v_fma_f16 v26, v61, 0x3722, -v51
	v_pk_add_f16 v24, v13, v2 neg_lo:[0,1] neg_hi:[0,1]
	v_mul_f16_e32 v37, 0xbbf7, v83
	v_lshrrev_b32_e32 v63, 16, v25
	v_mul_f16_e32 v55, 0xbbf7, v20
	v_add_f16_e32 v27, v26, v27
	v_lshrrev_b32_e32 v82, 16, v24
	v_pk_add_f16 v26, v10, v5 neg_lo:[0,1] neg_hi:[0,1]
	v_pk_add_f16 v29, v2, v13
	v_fmamk_f16 v30, v25, 0x2de8, v37
	v_fma_f16 v31, v63, 0x2de8, -v55
	v_mul_f16_e32 v39, 0xbbb2, v82
	v_lshrrev_b32_e32 v84, 16, v26
	v_lshrrev_b32_e32 v64, 16, v29
	v_mul_f16_e32 v57, 0xbbb2, v24
	v_add_f16_e32 v28, v30, v28
	v_fmamk_f16 v30, v29, 0xb461, v39
	v_pk_add_f16 v32, v5, v10
	v_mul_f16_e32 v40, 0xba62, v84
	v_add_f16_e32 v27, v31, v27
	v_fma_f16 v33, v64, 0xb461, -v57
	v_add_f16_e32 v28, v30, v28
	v_pk_add_f16 v31, v11, v4 neg_lo:[0,1] neg_hi:[0,1]
	v_fmamk_f16 v30, v32, 0xb8d2, v40
	v_lshrrev_b32_e32 v65, 16, v32
	v_add_f16_e32 v27, v33, v27
	v_mul_f16_e32 v58, 0xba62, v26
	v_lshrrev_b32_e32 v86, 16, v31
	v_pk_add_f16 v33, v4, v11
	v_add_f16_e32 v28, v30, v28
	v_pk_add_f16 v30, v6, v7 neg_lo:[0,1] neg_hi:[0,1]
	v_fma_f16 v42, v65, 0xb8d2, -v58
	v_mul_f16_e32 v41, 0xb836, v86
	v_lshrrev_b32_e32 v66, 16, v33
	v_mul_f16_e32 v56, 0xb836, v31
	v_lshrrev_b32_e32 v85, 16, v30
	v_pk_add_f16 v34, v7, v6
	v_add_f16_e32 v27, v42, v27
	v_fmamk_f16 v49, v33, 0xbacd, v41
	v_fma_f16 v52, v66, 0xbacd, -v56
	v_mul_f16_e32 v42, 0xb1e1, v85
	v_lshrrev_b32_e32 v62, 16, v34
	v_mul_f16_e32 v54, 0xb1e1, v30
	v_add_f16_e32 v28, v49, v28
	v_add_f16_e32 v49, v52, v27
	v_fmamk_f16 v27, v34, 0xbbdd, v42
	v_mul_lo_u16 v14, v48, 17
	v_fma_f16 v52, v62, 0xbbdd, -v54
	global_wb scope:SCOPE_SE
	s_barrier_signal -1
	v_add_f16_e32 v27, v27, v28
	s_barrier_wait -1
	v_add_f16_e32 v28, v52, v49
	global_inv scope:SCOPE_SE
	s_and_saveexec_b32 s0, vcc_lo
	s_cbranch_execz .LBB0_7
; %bb.6:
	v_mul_f16_e32 v89, 0xb964, v87
	v_alignbit_b32 v90, v67, v67, 16
	v_mul_f16_e32 v73, 0xbbf7, v80
	v_mul_f16_e32 v72, 0xba62, v81
	;; [unrolled: 1-line block ×3, first 2 shown]
	v_fmamk_f16 v67, v22, 0x39e9, v89
	v_mul_f16_e32 v71, 0xb1e1, v83
	v_fmamk_f16 v74, v59, 0x2de8, v73
	v_fmamk_f16 v77, v21, 0xb8d2, v72
	v_mul_f16_e32 v78, 0xb8d2, v18
	v_add_f16_e32 v75, v67, v8
	v_mul_f16_e32 v70, 0x3836, v82
	v_mul_f16_e32 v76, 0xbbdd, v61
	v_fmamk_f16 v91, v25, 0xbbdd, v71
	v_fmamk_f16 v92, v23, 0x3a62, v78
	v_add_f16_e32 v74, v74, v75
	v_fmamk_f16 v75, v15, 0x3b29, v79
	v_alignbit_b32 v52, v8, v8, 16
	v_mul_f16_e32 v69, 0x3bb2, v84
	v_fmamk_f16 v94, v29, 0xbacd, v70
	v_add_f16_e32 v77, v77, v74
	v_add_f16_e32 v93, v75, v38
	v_mul_f16_e32 v74, 0xb461, v63
	v_mul_f16_e32 v68, 0x3b29, v86
	;; [unrolled: 1-line block ×3, first 2 shown]
	v_add_f16_e32 v77, v91, v77
	v_fmamk_f16 v91, v19, 0xb1e1, v76
	v_add_f16_e32 v92, v92, v93
	v_fmamk_f16 v93, v32, 0xb461, v69
	v_fmamk_f16 v95, v20, 0xbbb2, v74
	v_add_f16_e32 v94, v94, v77
	v_pk_add_f16 v9, v9, v52 op_sel:[0,1] op_sel_hi:[1,0]
	v_add_f16_e32 v91, v91, v92
	v_mul_f16_e32 v67, 0x35c8, v85
	v_mul_f16_e32 v77, 0x3b76, v65
	v_fmamk_f16 v92, v33, 0x3722, v68
	v_add_f16_e32 v93, v93, v94
	v_fmamk_f16 v94, v24, 0xb964, v75
	v_add_f16_e32 v91, v95, v91
	v_pk_add_f16 v90, v90, v9
	v_fmamk_f16 v95, v34, 0x3b76, v67
	v_add_f16_e32 v92, v92, v93
	v_fmamk_f16 v93, v26, 0x35c8, v77
	v_add_f16_e32 v91, v94, v91
	v_pk_add_f16 v90, v16, v90
	v_mul_f16_e32 v100, 0x2de8, v60
	v_add_f16_e32 v9, v95, v92
	v_mul_f16_e32 v92, 0xbbf7, v87
	v_add_f16_e32 v91, v93, v91
	v_mul_f16_e32 v93, 0xbbb2, v87
	v_pk_add_f16 v12, v12, v90
	v_mul_f16_e32 v90, 0xba62, v87
	v_mul_f16_e32 v87, 0xb836, v87
	;; [unrolled: 1-line block ×3, first 2 shown]
	v_fmamk_f16 v95, v22, 0x2de8, v92
	v_pk_add_f16 v97, v13, v12
	v_fmamk_f16 v12, v22, 0xb8d2, v90
	v_fmamk_f16 v13, v22, 0xbacd, v87
	;; [unrolled: 1-line block ×3, first 2 shown]
	v_mul_f16_e32 v16, 0x2de8, v66
	v_sub_f16_e32 v88, v94, v88
	v_add_f16_e32 v98, v12, v8
	v_add_f16_e32 v99, v13, v8
	v_fma_f16 v12, v22, 0xbacd, -v87
	v_fma_f16 v13, v22, 0xb8d2, -v90
	;; [unrolled: 1-line block ×4, first 2 shown]
	v_fmamk_f16 v92, v15, 0x3bf7, v100
	v_mul_f16_e32 v93, 0xbbdd, v18
	v_fma_f16 v89, v22, 0x39e9, -v89
	v_add_f16_e32 v101, v12, v8
	v_add_f16_e32 v102, v13, v8
	;; [unrolled: 1-line block ×3, first 2 shown]
	v_fmamk_f16 v13, v23, 0x31e1, v93
	v_mul_f16_e32 v92, 0xb461, v61
	v_fmamk_f16 v94, v31, 0x3bf7, v16
	v_add_f16_e32 v95, v95, v8
	v_add_f16_e32 v96, v96, v8
	;; [unrolled: 1-line block ×6, first 2 shown]
	v_fmamk_f16 v104, v19, 0xbbb2, v92
	v_mul_f16_e32 v105, 0x3b76, v63
	v_add_f16_e32 v12, v88, v8
	v_mul_f16_e32 v13, 0xbacd, v62
	v_pk_add_f16 v8, v10, v97
	v_add_f16_e32 v10, v104, v87
	v_fmamk_f16 v87, v20, 0xb5c8, v105
	v_mul_f16_e32 v97, 0x3722, v64
	v_add_f16_e32 v88, v94, v91
	v_fmamk_f16 v91, v30, 0x3836, v13
	v_pk_add_f16 v11, v11, v8
	v_add_f16_e32 v10, v87, v10
	v_fmamk_f16 v87, v24, 0x3b29, v97
	v_mul_f16_e32 v94, 0xbacd, v65
	v_add_f16_e32 v8, v91, v88
	v_pk_add_f16 v6, v6, v11
	v_mul_f16_e32 v91, 0xb1e1, v80
	v_add_f16_e32 v10, v87, v10
	v_fmamk_f16 v11, v26, 0x3836, v94
	v_mul_f16_e32 v106, 0x3bb2, v81
	v_pk_add_f16 v88, v7, v6
	v_fmamk_f16 v7, v59, 0xbbdd, v91
	v_mul_f16_e32 v109, 0xbb29, v82
	v_add_f16_e32 v6, v11, v10
	v_fmamk_f16 v11, v21, 0xb461, v106
	v_mul_f16_e32 v111, 0xb836, v84
	v_add_f16_e32 v7, v7, v95
	v_mul_f16_e32 v95, 0x35c8, v83
	v_mul_f16_e32 v113, 0x3a62, v86
	;; [unrolled: 1-line block ×4, first 2 shown]
	v_add_f16_e32 v7, v11, v7
	v_fmamk_f16 v11, v25, 0x3b76, v95
	v_mul_f16_e32 v119, 0x3964, v81
	v_mul_f16_e32 v104, 0xb461, v60
	;; [unrolled: 1-line block ×4, first 2 shown]
	v_add_f16_e32 v7, v11, v7
	v_fmamk_f16 v11, v29, 0x3722, v109
	v_fmamk_f16 v10, v15, 0x3bb2, v104
	v_mul_f16_e32 v123, 0xb1e1, v82
	v_fmamk_f16 v87, v23, 0xb836, v107
	v_mul_f16_e32 v108, 0x39e9, v61
	v_add_f16_e32 v7, v11, v7
	v_fmamk_f16 v11, v32, 0xbacd, v111
	v_add_f16_e32 v10, v10, v38
	v_mul_f16_e32 v126, 0x3bf7, v84
	v_mul_f16_e32 v110, 0x3722, v63
	v_mul_f16_e64 v128, 0xb5c8, v86
	v_add_f16_e32 v7, v11, v7
	v_fmamk_f16 v11, v33, 0xb8d2, v113
	v_add_f16_e32 v10, v87, v10
	v_fmamk_f16 v87, v19, 0xb964, v108
	v_mul_f16_e32 v112, 0xbbdd, v64
	v_mul_f16_e64 v130, 0xba62, v85
	v_add_f16_e32 v7, v11, v7
	v_fmamk_f16 v11, v34, 0x39e9, v115
	v_add_f16_e32 v10, v87, v10
	v_fmamk_f16 v87, v20, 0x3b29, v110
	;; [unrolled: 6-line block ×7, first 2 shown]
	v_fmamk_f16 v124, v23, 0xbbb2, v122
	v_mul_f16_e32 v125, 0x3b76, v61
	v_add_f16_e32 v11, v96, v11
	v_fma_f16 v96, 0x3b76, v33, v128
	v_add_f16_e32 v87, v87, v38
	v_mul_f16_e64 v143, 0xb1e1, v86
	v_mul_f16_e32 v127, 0xbacd, v63
	v_mul_f16_e64 v145, 0x3b29, v85
	v_add_f16_e32 v11, v96, v11
	v_fma_f16 v96, 0xb8d2, v34, v130
	v_add_f16_e32 v87, v124, v87
	v_fmamk_f16 v124, v19, 0x35c8, v125
	v_mul_f16_e64 v129, 0x2de8, v64
	v_mul_f16_e32 v80, 0x3b29, v80
	v_add_f16_e32 v11, v96, v11
	v_fma_f16 v96, 0xb461, v59, v132
	v_add_f16_e32 v87, v124, v87
	v_fmamk_f16 v124, v20, 0x3836, v127
	v_mul_f16_e64 v131, 0x39e9, v65
	v_mul_f16_e32 v81, 0xbbf7, v81
	v_add_f16_e32 v96, v96, v98
	v_fma_f16 v98, 0x3b76, v21, v134
	v_add_f16_e32 v87, v124, v87
	v_fma_f16 v124, 0xbbf7, v24, v129
	v_mul_f16_e64 v133, 0xbbdd, v66
	v_mul_f16_e32 v83, 0x3a62, v83
	v_add_f16_e32 v96, v98, v96
	v_fma_f16 v98, 0xbacd, v25, v136
	v_add_f16_e32 v87, v124, v87
	v_fma_f16 v124, 0x3964, v26, v131
	;; [unrolled: 6-line block ×5, first 2 shown]
	v_fmac_f16_e64 v137, 0xb836, v15
	v_fma_f16 v141, 0xbb29, v23, v139
	v_add_f16_e32 v96, v98, v96
	v_fma_f16 v98, 0x3722, v34, v145
	v_add_f16_e32 v124, v124, v38
	v_mul_f16_e64 v142, 0x2de8, v61
	v_add_f16_e64 v137, v137, v38
	v_fmac_f16_e64 v139, 0x3b29, v23
	v_add_f16_e32 v96, v98, v96
	v_fmamk_f16 v98, v59, 0x3722, v80
	v_fma_f16 v80, v59, 0x3722, -v80
	v_add_f16_e64 v124, v141, v124
	v_fma_f16 v141, 0x3bf7, v19, v142
	v_mul_f16_e64 v144, 0xb8d2, v63
	v_add_f16_e32 v98, v98, v99
	v_fmamk_f16 v99, v21, 0x2de8, v81
	v_add_f16_e32 v80, v80, v101
	v_fma_f16 v81, v21, 0x2de8, -v81
	v_add_f16_e64 v137, v139, v137
	v_fmac_f16_e64 v142, 0xbbf7, v19
	v_add_f16_e32 v98, v99, v98
	v_fmamk_f16 v99, v25, 0xb8d2, v83
	v_add_f16_e32 v80, v81, v80
	v_fma_f16 v81, v25, 0xb8d2, -v83
	v_add_f16_e64 v124, v141, v124
	v_fma_f16 v141, 0xba62, v20, v144
	v_add_f16_e32 v98, v99, v98
	v_fmamk_f16 v99, v29, 0x3b76, v82
	v_add_f16_e32 v80, v81, v80
	v_fma_f16 v81, v29, 0x3b76, -v82
	v_mul_f16_e64 v146, 0x3b76, v64
	v_add_f16_e64 v137, v142, v137
	v_add_f16_e32 v98, v99, v98
	v_fmamk_f16 v99, v32, 0xbbdd, v84
	v_add_f16_e32 v80, v81, v80
	v_fma_f16 v81, v32, 0xbbdd, -v84
	v_fma_f16 v84, v59, 0xb461, -v132
	v_fmac_f16_e64 v144, 0x3a62, v20
	v_add_f16_e32 v98, v99, v98
	v_fmamk_f16 v99, v33, 0x39e9, v86
	v_add_f16_e32 v80, v81, v80
	v_fma_f16 v81, v33, 0x39e9, -v86
	v_add_f16_e32 v84, v84, v102
	v_fma_f16 v86, v21, 0x3b76, -v134
	v_add_f16_e64 v124, v141, v124
	v_fma_f16 v141, 0x35c8, v24, v146
	v_add_f16_e32 v80, v81, v80
	v_mul_f16_e64 v147, 0xbbdd, v65
	v_add_f16_e32 v81, v86, v84
	v_fma_f16 v84, v25, 0xbacd, -v136
	v_add_f16_e64 v137, v144, v137
	v_fmac_f16_e64 v146, 0xb5c8, v24
	v_add_f16_e64 v124, v141, v124
	v_fma_f16 v141, 0x31e1, v26, v147
	v_add_f16_e32 v81, v84, v81
	v_fma_f16 v84, v29, 0x2de8, -v138
	v_add_f16_e32 v98, v99, v98
	v_mul_f16_e32 v85, 0xbbb2, v85
	v_add_f16_e64 v99, v146, v137
	v_fmac_f16_e64 v147, 0xb1e1, v26
	v_add_f16_e32 v81, v84, v81
	v_fma_f16 v84, v32, 0x39e9, -v140
	v_fmac_f16_e32 v120, 0xba62, v15
	v_fmamk_f16 v101, v34, 0xb461, v85
	v_add_f16_e64 v83, v147, v99
	v_fmac_f16_e32 v122, 0x3bb2, v23
	v_add_f16_e32 v81, v84, v81
	v_fma_f16 v84, v33, 0xbbdd, -v143
	v_add_f16_e32 v99, v120, v38
	v_add_f16_e32 v82, v101, v98
	v_fmac_f16_e32 v125, 0xb5c8, v19
	v_fmac_f16_e32 v100, 0xbbf7, v15
	v_add_f16_e32 v81, v84, v81
	v_fma_f16 v84, v59, 0xbacd, -v117
	v_add_f16_e32 v98, v122, v99
	v_fma_f16 v99, v21, 0x39e9, -v119
	v_fmac_f16_e32 v79, 0xbb29, v15
	v_fmac_f16_e32 v127, 0xb836, v20
	v_add_f16_e32 v84, v84, v103
	v_add_f16_e32 v98, v125, v98
	;; [unrolled: 1-line block ×3, first 2 shown]
	v_fmac_f16_e32 v93, 0xb1e1, v23
	v_fma_f16 v91, v59, 0xbbdd, -v91
	v_add_f16_e32 v84, v99, v84
	v_fma_f16 v99, v25, 0x3722, -v121
	v_add_f16_e32 v79, v79, v38
	v_fmac_f16_e32 v78, 0xba62, v23
	v_mul_f16_e32 v60, 0x3b76, v60
	v_add_f16_e32 v98, v127, v98
	v_fmac_f16_e64 v129, 0x3bf7, v24
	v_fmac_f16_e32 v104, 0xbbb2, v15
	v_add_f16_e32 v93, v93, v100
	v_fmac_f16_e32 v92, 0x3bb2, v19
	v_add_f16_e32 v84, v99, v84
	v_fma_f16 v99, v29, 0xbbdd, -v123
	v_add_f16_e32 v90, v91, v90
	v_fma_f16 v91, v21, 0xb461, -v106
	v_add_f16_e32 v78, v78, v79
	v_mul_f16_e32 v79, 0x39e9, v18
	v_fmac_f16_e32 v76, 0x31e1, v19
	v_add_f16_e32 v53, v53, v60
	v_add_f16_e64 v86, v129, v98
	v_add_f16_e32 v98, v104, v38
	v_add_f16_e32 v92, v92, v93
	v_fmac_f16_e32 v105, 0x35c8, v20
	v_add_f16_e32 v84, v99, v84
	v_fma_f16 v93, v32, 0x2de8, -v126
	v_add_f16_e32 v90, v91, v90
	v_fma_f16 v91, v25, 0x3b76, -v95
	v_mul_f16_e32 v61, 0x3722, v61
	v_add_f16_e32 v76, v76, v78
	v_fmac_f16_e32 v74, 0x3bb2, v20
	v_add_f16_e32 v38, v53, v38
	v_add_f16_e32 v50, v50, v79
	;; [unrolled: 1-line block ×3, first 2 shown]
	v_fmac_f16_e32 v97, 0xbb29, v24
	v_add_f16_e32 v84, v93, v84
	v_fma_f16 v93, v33, 0x3b76, -v128
	v_add_f16_e32 v90, v91, v90
	v_fma_f16 v91, v29, 0x3722, -v109
	v_mul_f16_e32 v63, 0x2de8, v63
	v_add_f16_e32 v74, v74, v76
	v_fmac_f16_e32 v75, 0x3964, v24
	v_add_f16_e32 v38, v50, v38
	v_add_f16_e32 v51, v51, v61
	;; [unrolled: 1-line block ×3, first 2 shown]
	v_fmac_f16_e32 v94, 0xb836, v26
	v_mul_f16_e32 v97, 0xb8d2, v66
	v_add_f16_e32 v84, v93, v84
	v_fma_f16 v95, v34, 0xb8d2, -v130
	v_add_f16_e32 v90, v91, v90
	v_fma_f16 v91, v32, 0xbacd, -v111
	v_mul_f16_e32 v64, 0xb461, v64
	v_add_f16_e32 v74, v75, v74
	v_fmac_f16_e32 v77, 0xb5c8, v26
	v_add_f16_e32 v38, v51, v38
	v_add_f16_e32 v55, v55, v63
	;; [unrolled: 1-line block ×3, first 2 shown]
	v_fmamk_f16 v93, v31, 0xba62, v97
	v_fmac_f16_e32 v97, 0x3a62, v31
	v_mul_f16_e32 v94, 0x39e9, v62
	v_add_f16_e32 v84, v95, v84
	v_add_f16_e32 v90, v91, v90
	v_fma_f16 v91, v33, 0xb8d2, -v113
	v_mul_f16_e32 v95, 0x39e9, v59
	v_mul_f16_e32 v65, 0xb8d2, v65
	v_fma_f16 v59, v59, 0x2de8, -v73
	v_pk_mul_f16 v75, 0x39e93722, v22
	v_add_f16_e32 v74, v77, v74
	v_fmac_f16_e32 v16, 0xbbf7, v31
	v_add_f16_e32 v38, v55, v38
	v_add_f16_e32 v57, v57, v64
	;; [unrolled: 1-line block ×3, first 2 shown]
	v_fmamk_f16 v97, v30, 0x3964, v94
	v_add_f16_e32 v90, v91, v90
	v_mul_f16_e32 v91, 0x3722, v21
	v_add_f16_e32 v59, v59, v89
	v_pk_mul_f16 v89, 0xba62bbf7, v23
	v_fma_f16 v72, v21, 0xb8d2, -v72
	v_pk_fma_f16 v77, 0xbb29b964, v15, v75 op_sel:[0,0,1] op_sel_hi:[1,1,0] neg_lo:[0,1,0] neg_hi:[0,1,0]
	v_add_f16_e32 v16, v16, v74
	v_pk_fma_f16 v75, 0xbb29b964, v15, v75 op_sel:[0,0,1] op_sel_hi:[1,1,0]
	v_add_f16_e32 v38, v57, v38
	v_sub_f16_e32 v36, v95, v36
	v_fmac_f16_e32 v13, 0xb836, v30
	v_add_f16_e32 v58, v58, v65
	v_add_f16_e32 v92, v97, v92
	v_fma_f16 v97, v34, 0x39e9, -v115
	v_mul_f16_e32 v78, 0x2de8, v25
	v_pk_mul_f16 v60, 0xb8d2bbdd, v21
	v_add_f16_e32 v59, v72, v59
	v_pk_fma_f16 v72, 0xb8d22de8, v18, v89 neg_lo:[0,0,1] neg_hi:[0,0,1]
	v_fma_f16 v71, v25, 0xbbdd, -v71
	v_pk_fma_f16 v89, 0xb8d22de8, v18, v89
	v_add_f16_e32 v13, v13, v16
	v_add_f16_e32 v12, v36, v12
	v_sub_f16_e32 v16, v91, v35
	v_add_f16_e32 v36, v58, v38
	v_pk_add_f16 v4, v4, v88
	v_bfi_b32 v38, 0xffff, v75, v77
	v_add_f16_e32 v90, v97, v90
	v_mul_f16_e32 v97, 0xb461, v29
	v_pk_fma_f16 v53, 0x31e1ba62, v19, v60 op_sel:[0,0,1] op_sel_hi:[1,1,0] neg_lo:[0,1,0] neg_hi:[0,1,0]
	v_pk_mul_f16 v79, 0xbbddb461, v25
	v_add_f16_e32 v59, v71, v59
	v_fma_f16 v70, v29, 0xbacd, -v70
	v_pk_fma_f16 v60, 0x31e1ba62, v19, v60 op_sel:[0,0,1] op_sel_hi:[1,1,0]
	v_add_f16_e32 v12, v16, v12
	v_sub_f16_e32 v16, v78, v37
	v_pk_add_f16 v4, v5, v4
	v_pk_add_f16 v5, v38, v52
	v_bfi_b32 v38, 0xffff, v89, v72
	v_mul_f16_e64 v148, 0x39e9, v66
	v_mul_f16_e32 v76, 0xb8d2, v32
	v_pk_mul_f16 v71, 0xbacd39e9, v29
	v_pk_fma_f16 v50, 0x3bb2b1e1, v20, v79 op_sel:[0,0,1] op_sel_hi:[1,1,0] neg_lo:[0,1,0] neg_hi:[0,1,0]
	v_add_f16_e32 v59, v70, v59
	v_fma_f16 v69, v32, 0xb461, -v69
	v_pk_fma_f16 v79, 0x3bb2b1e1, v20, v79 op_sel:[0,0,1] op_sel_hi:[1,1,0]
	v_add_f16_e32 v12, v16, v12
	v_sub_f16_e32 v16, v97, v39
	v_pk_add_f16 v2, v2, v4
	v_pk_add_f16 v4, v38, v5
	v_bfi_b32 v5, 0xffff, v60, v53
	v_add_f16_e64 v124, v141, v124
	v_fma_f16 v141, 0xb964, v31, v148
	v_mul_f16_e32 v73, 0xbacd, v33
	v_mul_f16_e32 v66, 0xbacd, v66
	v_pk_fma_f16 v61, 0x39643836, v24, v71 op_sel:[0,0,1] op_sel_hi:[1,1,0] neg_lo:[0,1,0] neg_hi:[0,1,0]
	v_pk_mul_f16 v70, 0xb4613b76, v32
	v_add_f16_e32 v59, v69, v59
	v_fma_f16 v68, v33, 0x3722, -v68
	v_pk_fma_f16 v71, 0x39643836, v24, v71 op_sel:[0,0,1] op_sel_hi:[1,1,0]
	v_add_f16_e32 v12, v16, v12
	v_sub_f16_e32 v16, v76, v40
	v_pk_add_f16 v2, v3, v2
	v_pk_add_f16 v3, v5, v4
	v_bfi_b32 v4, 0xffff, v79, v50
	v_add_f16_e64 v124, v141, v124
	v_mul_f16_e64 v141, 0xb461, v62
	v_pk_mul_f16 v63, 0x37222de8, v33
	v_pk_fma_f16 v69, 0xb5c83bb2, v26, v70 op_sel:[0,0,1] op_sel_hi:[1,1,0] neg_lo:[0,1,0] neg_hi:[0,1,0]
	v_add_f16_e32 v59, v68, v59
	v_mul_f16_e32 v68, 0xbbdd, v34
	v_pk_fma_f16 v70, 0xb5c83bb2, v26, v70 op_sel:[0,0,1] op_sel_hi:[1,1,0]
	v_mul_f16_e32 v62, 0xbbdd, v62
	v_add_f16_e32 v37, v56, v66
	v_add_f16_e32 v5, v16, v12
	v_sub_f16_e32 v12, v73, v41
	v_pk_add_f16 v0, v0, v2
	v_pk_add_f16 v2, v4, v3
	v_bfi_b32 v3, 0xffff, v71, v61
	v_pk_fma_f16 v55, 0xbbf73b29, v31, v63 op_sel:[0,0,1] op_sel_hi:[1,1,0] neg_lo:[0,1,0] neg_hi:[0,1,0]
	v_pk_fma_f16 v63, 0xbbf73b29, v31, v63 op_sel:[0,0,1] op_sel_hi:[1,1,0]
	v_add_f16_e32 v36, v37, v36
	v_add_f16_e32 v37, v54, v62
	;; [unrolled: 1-line block ×3, first 2 shown]
	v_sub_f16_e32 v5, v68, v42
	v_pk_add_f16 v0, v1, v0
	v_pk_add_f16 v1, v3, v2
	v_bfi_b32 v2, 0xffff, v70, v69
	v_pk_mul_f16 v64, 0x3b76bacd, v34
	v_add_f16_e32 v16, v37, v36
	v_and_b32_e32 v12, 0xffff, v14
	v_add_f16_e32 v3, v5, v4
	v_pk_mul_f16 v5, 0xbbdd, v22 op_sel_hi:[0,1]
	v_pk_add_f16 v1, v2, v1
	v_bfi_b32 v2, 0xffff, v63, v55
	v_fmac_f16_e64 v131, 0xb964, v26
	v_pk_add_f16 v51, v75, v52
	v_pk_fma_f16 v57, 0xb83635c8, v30, v64 op_sel:[0,0,1] op_sel_hi:[1,1,0] neg_lo:[0,1,0] neg_hi:[0,1,0]
	v_lshlrev_b32_e32 v4, 2, v12
	v_pk_add_f16 v0, v17, v0
	v_pack_b32_f16 v3, v3, v16
	v_pk_fma_f16 v12, 0xb83635c8, v30, v64 op_sel:[0,0,1] op_sel_hi:[1,1,0]
	v_pk_fma_f16 v16, 0xb1e1, v15, v5 op_sel:[0,0,1] op_sel_hi:[0,1,0] neg_lo:[0,1,0] neg_hi:[0,1,0]
	v_pk_mul_f16 v17, 0x35c8, v23 op_sel_hi:[0,1]
	v_pk_add_f16 v1, v2, v1
	v_pk_fma_f16 v2, 0xb1e1, v15, v5 op_sel:[0,0,1] op_sel_hi:[0,1,0]
	v_add_f16_e64 v86, v131, v86
	v_fmac_f16_e64 v133, 0xb1e1, v31
	v_fmac_f16_e32 v107, 0x3836, v23
	v_pk_add_f16 v51, v89, v51
	v_bfi_b32 v5, 0xffff, v12, v57
	v_pk_add_f16 v12, v16, v52
	v_pk_fma_f16 v15, 0x3b76, v18, v17 op_sel_hi:[0,1,1] neg_lo:[0,0,1] neg_hi:[0,0,1]
	v_pk_mul_f16 v16, 0xbacd, v21 op_sel_hi:[0,1]
	v_pk_add_f16 v2, v2, v52
	v_pk_fma_f16 v17, 0x3b76, v18, v17 op_sel_hi:[0,1,1]
	v_fma_f16 v85, v34, 0xb461, -v85
	v_add_f16_e64 v86, v133, v86
	v_fmac_f16_e64 v135, 0x3b29, v30
	v_add_f16_e32 v98, v107, v98
	v_fmac_f16_e32 v108, 0x3964, v19
	v_pk_add_f16 v51, v60, v51
	v_pk_add_f16 v1, v5, v1
	;; [unrolled: 1-line block ×3, first 2 shown]
	v_pk_fma_f16 v12, 0xb836, v19, v16 op_sel:[0,0,1] op_sel_hi:[0,1,0] neg_lo:[0,1,0] neg_hi:[0,1,0]
	v_pk_mul_f16 v15, 0x39e9, v25 op_sel_hi:[0,1]
	v_pk_add_f16 v2, v17, v2
	v_pk_fma_f16 v16, 0xb836, v19, v16 op_sel:[0,0,1] op_sel_hi:[0,1,0]
	v_add_f16_e32 v74, v77, v52
	v_add_f16_e32 v80, v85, v80
	v_add_f16_e64 v85, v135, v86
	v_add_f16_e32 v86, v108, v98
	v_fmac_f16_e32 v110, 0xbb29, v20
	v_pk_add_f16 v51, v79, v51
	v_pk_add_f16 v5, v12, v5
	v_pk_fma_f16 v12, 0x3964, v20, v15 op_sel:[0,0,1] op_sel_hi:[0,1,0] neg_lo:[0,1,0] neg_hi:[0,1,0]
	v_pk_mul_f16 v17, 0xb8d2, v29 op_sel_hi:[0,1]
	v_pk_add_f16 v2, v16, v2
	v_pk_fma_f16 v15, 0x3964, v20, v15 op_sel:[0,0,1] op_sel_hi:[0,1,0]
	v_add_f16_e32 v74, v72, v74
	v_add_f16_e32 v86, v110, v86
	v_fmac_f16_e32 v112, 0xb1e1, v24
	v_pk_add_f16 v51, v71, v51
	v_pk_add_f16 v5, v12, v5
	v_pk_fma_f16 v12, 0xba62, v24, v17 op_sel:[0,0,1] op_sel_hi:[0,1,0] neg_lo:[0,1,0] neg_hi:[0,1,0]
	v_pk_mul_f16 v16, 0x3722, v32 op_sel_hi:[0,1]
	v_pk_add_f16 v2, v15, v2
	v_pk_fma_f16 v15, 0xba62, v24, v17 op_sel:[0,0,1] op_sel_hi:[0,1,0]
	v_add_f16_e32 v74, v53, v74
	v_add_f16_e32 v86, v112, v86
	v_fmac_f16_e32 v114, 0x3bf7, v26
	v_pk_add_f16 v51, v70, v51
	v_mul_f16_e32 v65, 0x3964, v30
	v_pk_add_f16 v5, v12, v5
	v_pk_fma_f16 v12, 0x3b29, v26, v16 op_sel:[0,0,1] op_sel_hi:[0,1,0] neg_lo:[0,1,0] neg_hi:[0,1,0]
	v_pk_mul_f16 v18, 0xb461, v33 op_sel_hi:[0,1]
	v_pk_add_f16 v2, v15, v2
	v_pk_fma_f16 v15, 0x3b29, v26, v16 op_sel:[0,0,1] op_sel_hi:[0,1,0]
	v_add_f16_e32 v74, v50, v74
	v_add_f16_e32 v86, v114, v86
	v_fmac_f16_e32 v116, 0xb5c8, v31
	v_fmac_f16_e64 v148, 0x3964, v31
	v_pk_mul_f16 v95, 0xb83635c8, v30
	v_pk_add_f16 v5, v12, v5
	v_pk_fma_f16 v12, 0xbbb2, v31, v18 op_sel:[0,0,1] op_sel_hi:[0,1,0] neg_lo:[0,1,0] neg_hi:[0,1,0]
	v_pk_mul_f16 v19, 0x2de8, v34 op_sel_hi:[0,1]
	v_pk_add_f16 v2, v15, v2
	v_pk_fma_f16 v15, 0xbbb2, v31, v18 op_sel:[0,0,1] op_sel_hi:[0,1,0]
	v_bfi_b32 v20, 0xffff, v65, v51
	v_add_f16_e32 v74, v61, v74
	v_fma_f16 v67, v34, 0x3b76, -v67
	v_add_f16_e32 v86, v116, v86
	v_fmac_f16_e32 v118, 0xba62, v30
	v_fma_f16 v139, 0x3bb2, v30, v141
	v_add_f16_e64 v83, v148, v83
	v_fmac_f16_e64 v141, 0xbbb2, v30
	v_fma_f16 v98, v34, 0x3722, -v145
	v_pk_add_f16 v5, v12, v5
	v_pk_fma_f16 v12, 0x3bf7, v30, v19 op_sel:[0,0,1] op_sel_hi:[0,1,0] neg_lo:[0,1,0] neg_hi:[0,1,0]
	v_pk_add_f16 v2, v15, v2
	v_pk_fma_f16 v15, 0x3bf7, v30, v19 op_sel:[0,0,1] op_sel_hi:[0,1,0]
	v_pack_b32_f16 v19, v93, v64
	v_bfi_b32 v6, 0xffff, v6, v95
	v_pk_add_f16 v20, v94, v20 neg_lo:[0,1] neg_hi:[0,1]
	v_pk_add_f16 v21, v63, v51
	v_add_f16_e32 v74, v69, v74
	v_add_f16_e32 v35, v67, v59
	;; [unrolled: 1-line block ×3, first 2 shown]
	v_add_f16_e64 v83, v141, v83
	v_add_f16_e32 v81, v98, v81
	v_pk_add_f16 v5, v12, v5
	v_pk_add_f16 v6, v19, v6
	v_bfi_b32 v12, 0xffff, v20, v21
	v_add_f16_e32 v74, v55, v74
	v_alignbit_b32 v13, v13, v1, 16
	v_pack_b32_f16 v1, v35, v1
	v_pack_b32_f16 v17, v84, v86
	;; [unrolled: 1-line block ×3, first 2 shown]
	v_pk_add_f16 v2, v15, v2
	v_add_f16_e64 v124, v139, v124
	v_pack_b32_f16 v18, v80, v83
	v_pack_b32_f16 v22, v81, v85
	ds_store_2addr_b32 v4, v0, v3 offset1:1
	ds_store_2addr_b32 v4, v1, v13 offset0:2 offset1:3
	ds_store_2addr_b32 v4, v16, v17 offset0:4 offset1:5
	;; [unrolled: 1-line block ×3, first 2 shown]
	v_pk_add_f16 v1, v12, v6
	v_add_f16_e32 v74, v57, v74
	v_alignbit_b32 v0, v5, v2, 16
	v_alignbit_b32 v2, v2, v5, 16
	v_pack_b32_f16 v3, v96, v87
	v_pack_b32_f16 v5, v82, v124
	;; [unrolled: 1-line block ×3, first 2 shown]
	v_alignbit_b32 v8, v8, v1, 16
	v_pack_b32_f16 v1, v7, v1
	v_pack_b32_f16 v7, v9, v74
	v_perm_b32 v9, v28, v27, 0x5040100
	ds_store_2addr_b32 v4, v2, v0 offset0:8 offset1:9
	ds_store_2addr_b32 v4, v5, v3 offset0:10 offset1:11
	ds_store_b32 v4, v6 offset:48
	ds_store_2addr_b32 v4, v1, v8 offset0:13 offset1:14
	ds_store_2addr_b32 v4, v7, v9 offset0:15 offset1:16
.LBB0_7:
	s_wait_alu 0xfffe
	s_or_b32 exec_lo, exec_lo, s0
	v_add_nc_u16 v16, v48, 0x66
	v_and_b32_e32 v0, 0xff, v48
	v_add_co_u32 v17, null, 0x132, v48
	v_add_co_u32 v18, null, 0xcc, v48
	s_delay_alu instid0(VALU_DEP_4) | instskip(NEXT) | instid1(VALU_DEP_4)
	v_and_b32_e32 v21, 0xff, v16
	v_mul_lo_u16 v3, 0xf1, v0
	v_add_co_u32 v15, null, 0x198, v48
	v_add_nc_u16 v19, v48, 0x1fe
	s_delay_alu instid0(VALU_DEP_4) | instskip(NEXT) | instid1(VALU_DEP_4)
	v_mul_lo_u16 v37, 0xf1, v21
	v_lshrrev_b16 v38, 12, v3
	v_add_co_u32 v41, null, 0x264, v48
	v_add_co_u32 v61, null, 0x2ca, v48
	v_and_b32_e32 v4, 0xffff, v17
	v_and_b32_e32 v1, 0xffff, v18
	;; [unrolled: 1-line block ×4, first 2 shown]
	v_lshrrev_b16 v39, 12, v37
	v_mul_lo_u16 v0, v38, 17
	v_and_b32_e32 v7, 0xffff, v41
	v_mul_u32_u24_e32 v24, 0xf0f1, v4
	v_and_b32_e32 v4, 0xffff, v61
	v_mul_u32_u24_e32 v20, 0xf0f1, v1
	v_mul_u32_u24_e32 v23, 0xf0f1, v5
	;; [unrolled: 1-line block ×3, first 2 shown]
	v_mul_lo_u16 v1, v39, 17
	v_sub_nc_u16 v0, v48, v0
	v_mul_u32_u24_e32 v62, 0xf0f1, v7
	v_lshrrev_b32_e32 v63, 20, v24
	v_mul_u32_u24_e32 v64, 0xf0f1, v4
	v_lshrrev_b32_e32 v40, 20, v20
	v_lshrrev_b32_e32 v65, 20, v23
	;; [unrolled: 1-line block ×3, first 2 shown]
	v_sub_nc_u16 v1, v16, v1
	v_and_b32_e32 v59, 0xff, v0
	v_lshrrev_b32_e32 v67, 20, v62
	v_mul_lo_u16 v4, v63, 17
	v_lshrrev_b32_e32 v68, 20, v64
	v_mul_lo_u16 v2, v40, 17
	v_mul_lo_u16 v5, v65, 17
	;; [unrolled: 1-line block ×3, first 2 shown]
	v_and_b32_e32 v60, 0xff, v1
	v_lshlrev_b32_e32 v1, 2, v59
	v_mul_lo_u16 v7, v67, 17
	v_sub_nc_u16 v69, v17, v4
	v_mul_lo_u16 v4, v68, 17
	v_sub_nc_u16 v42, v18, v2
	v_sub_nc_u16 v70, v15, v5
	;; [unrolled: 1-line block ×3, first 2 shown]
	s_load_b128 s[4:7], s[4:5], 0x0
	global_wb scope:SCOPE_SE
	s_wait_dscnt 0x0
	s_wait_kmcnt 0x0
	s_barrier_signal -1
	s_barrier_wait -1
	global_inv scope:SCOPE_SE
	v_sub_nc_u16 v72, v41, v7
	v_sub_nc_u16 v73, v61, v4
	global_load_b32 v58, v1, s[2:3]
	v_and_b32_e32 v0, 0xffff, v42
	v_and_b32_e32 v5, 0xffff, v69
	v_and_b32_e32 v4, 0xffff, v70
	v_and_b32_e32 v6, 0xffff, v71
	v_lshlrev_b32_e32 v2, 2, v60
	v_and_b32_e32 v7, 0xffff, v72
	v_and_b32_e32 v1, 0xffff, v73
	v_lshlrev_b32_e32 v0, 2, v0
	v_lshlrev_b32_e32 v5, 2, v5
	;; [unrolled: 1-line block ×6, first 2 shown]
	s_clause 0x6
	global_load_b32 v57, v2, s[2:3]
	global_load_b32 v56, v0, s[2:3]
	global_load_b32 v55, v5, s[2:3]
	global_load_b32 v54, v4, s[2:3]
	global_load_b32 v53, v6, s[2:3]
	global_load_b32 v45, v7, s[2:3]
	global_load_b32 v43, v1, s[2:3]
	v_and_b32_e32 v0, 0xffff, v48
	v_mul_lo_u16 v38, v38, 34
	v_lshrrev_b32_e32 v81, 21, v64
	v_and_b32_e32 v39, 0xffff, v39
	v_lshrrev_b32_e32 v80, 21, v62
	v_lshlrev_b32_e32 v50, 2, v0
	v_and_b32_e32 v38, 0xfe, v38
	v_lshrrev_b16 v3, 13, v3
	v_mul_lo_u16 v85, v81, 34
	v_mul_u32_u24_e32 v39, 34, v39
	v_add_nc_u32_e32 v6, 0xc00, v50
	v_add_nc_u32_e32 v4, 0x200, v50
	v_add_nc_u32_e32 v2, 0xe00, v50
	v_add_nc_u32_e32 v0, 0x400, v50
	v_add_nc_u32_e32 v1, 0x1200, v50
	ds_load_2addr_b32 v[8:9], v50 offset1:102
	v_add_nc_u32_e32 v5, 0x800, v50
	v_add_nc_u32_e32 v7, 0x1400, v50
	ds_load_2addr_b32 v[10:11], v6 offset0:48 offset1:150
	ds_load_2addr_b32 v[12:13], v4 offset0:76 offset1:178
	;; [unrolled: 1-line block ×7, first 2 shown]
	v_add_lshl_u32 v87, v38, v59, 2
	v_mad_u16 v38, v40, 34, v42
	v_mad_u16 v40, v63, 34, v69
	v_mul_lo_u16 v84, v80, 34
	v_mul_lo_u16 v74, v3, 34
	v_lshrrev_b32_e32 v76, 21, v20
	v_sub_nc_u16 v95, v61, v85
	v_mad_u16 v42, v65, 34, v70
	v_mad_u16 v61, v66, 34, v71
	v_add_lshl_u32 v88, v39, v60, 2
	v_and_b32_e32 v38, 0xffff, v38
	v_and_b32_e32 v39, 0xffff, v40
	v_sub_nc_u16 v41, v41, v84
	s_wait_dscnt 0x6
	v_lshrrev_b32_e32 v71, 16, v10
	v_lshrrev_b32_e32 v77, 21, v24
	v_sub_nc_u16 v62, v48, v74
	v_mul_lo_u16 v74, v76, 34
	v_mad_u16 v63, v67, 34, v72
	v_lshrrev_b32_e32 v72, 16, v11
	v_and_b32_e32 v40, 0xffff, v42
	v_lshlrev_b32_e32 v246, 2, v38
	v_lshlrev_b32_e32 v89, 2, v39
	v_lshrrev_b16 v37, 13, v37
	v_and_b32_e32 v69, 0xffff, v41
	s_wait_dscnt 0x4
	v_lshrrev_b32_e32 v97, 16, v25
	v_and_b32_e32 v42, 0xffff, v61
	v_and_b32_e32 v70, 0xffff, v95
	v_lshrrev_b32_e32 v99, 16, v26
	s_wait_dscnt 0x2
	v_lshrrev_b32_e32 v101, 16, v31
	v_lshrrev_b32_e32 v103, 16, v32
	v_mul_lo_u16 v75, v77, 34
	v_sub_nc_u16 v92, v18, v74
	v_lshrrev_b32_e32 v74, 16, v8
	s_wait_dscnt 0x0
	v_lshrrev_b32_e32 v105, 16, v35
	v_lshrrev_b32_e32 v107, 16, v36
	v_lshlrev_b32_e32 v90, 2, v40
	v_mul_lo_u16 v64, v37, 34
	v_lshlrev_b32_e32 v112, 2, v69
	v_lshlrev_b32_e32 v243, 2, v42
	;; [unrolled: 1-line block ×3, first 2 shown]
	v_lshrrev_b32_e32 v78, 21, v23
	v_lshrrev_b32_e32 v79, 21, v22
	v_sub_nc_u16 v93, v17, v75
	v_lshrrev_b32_e32 v75, 16, v9
	v_and_b32_e32 v91, 0xff, v62
	v_sub_nc_u16 v62, v16, v64
	v_mad_u16 v64, v68, 34, v73
	v_lshrrev_b32_e32 v73, 16, v12
	v_lshrrev_b32_e32 v98, 16, v13
	;; [unrolled: 1-line block ×3, first 2 shown]
	v_mul_lo_u16 v82, v78, 34
	v_lshrrev_b32_e32 v102, 16, v30
	v_mul_lo_u16 v83, v79, 34
	v_lshrrev_b32_e32 v104, 16, v33
	v_lshrrev_b32_e32 v106, 16, v34
	v_sub_nc_u16 v82, v15, v82
	v_and_b32_e32 v96, 0xff, v62
	v_sub_nc_u16 v94, v19, v83
	v_and_b32_e32 v62, 0xffff, v92
	v_and_b32_e32 v65, 0xffff, v93
	;; [unrolled: 1-line block ×3, first 2 shown]
	v_lshlrev_b32_e32 v66, 2, v91
	v_and_b32_e32 v68, 0xffff, v94
	v_and_b32_e32 v83, 0xffff, v63
	;; [unrolled: 1-line block ×3, first 2 shown]
	global_wb scope:SCOPE_SE
	s_wait_loadcnt 0x0
	s_barrier_signal -1
	s_barrier_wait -1
	global_inv scope:SCOPE_SE
	v_lshlrev_b32_e32 v108, 2, v96
	v_lshlrev_b32_e32 v109, 2, v62
	;; [unrolled: 1-line block ×7, first 2 shown]
	v_mul_lo_u16 v3, 0x44, v3
	v_cmp_gt_u16_e64 s0, 34, v48
	s_delay_alu instid0(VALU_DEP_2) | instskip(NEXT) | instid1(VALU_DEP_1)
	v_and_b32_e32 v3, 0xfc, v3
	v_add_lshl_u32 v91, v3, v91, 2
	v_mad_u16 v3, 0x44, v76, v92
	v_lshrrev_b32_e32 v85, 16, v58
	s_delay_alu instid0(VALU_DEP_1)
	v_mul_f16_e32 v38, v71, v85
	v_mul_f16_e32 v39, v10, v85
	v_lshrrev_b32_e32 v128, 16, v57
	v_lshrrev_b32_e32 v86, 16, v56
	;; [unrolled: 1-line block ×7, first 2 shown]
	v_fma_f16 v10, v10, v58, -v38
	v_fmac_f16_e32 v39, v71, v58
	v_mul_f16_e64 v38, v72, v128
	v_mul_f16_e64 v40, v11, v128
	v_mul_f16_e32 v42, v97, v86
	v_mul_f16_e32 v69, v25, v86
	v_mul_f16_e64 v70, v99, v248
	v_mul_f16_e64 v71, v26, v248
	v_mul_f16_e32 v114, v101, v127
	v_mul_f16_e32 v115, v31, v127
	;; [unrolled: 4-line block ×3, first 2 shown]
	v_mul_f16_e32 v120, v107, v46
	v_mul_f16_e32 v121, v36, v46
	v_fma_f16 v11, v11, v57, -v38
	v_fmac_f16_e32 v40, v72, v57
	v_sub_f16_e32 v10, v8, v10
	v_sub_f16_e32 v38, v74, v39
	v_fma_f16 v25, v25, v56, -v42
	v_fmac_f16_e32 v69, v97, v56
	v_fma_f16 v26, v26, v55, -v70
	v_fmac_f16_e32 v71, v99, v55
	;; [unrolled: 2-line block ×6, first 2 shown]
	v_fma_f16 v8, v8, 2.0, -v10
	v_fma_f16 v39, v74, 2.0, -v38
	v_sub_f16_e32 v11, v9, v11
	v_sub_f16_e32 v40, v75, v40
	v_sub_f16_e32 v25, v12, v25
	v_sub_f16_e32 v42, v73, v69
	v_sub_f16_e32 v26, v13, v26
	v_sub_f16_e32 v69, v98, v71
	v_sub_f16_e32 v31, v29, v31
	v_sub_f16_e32 v70, v100, v115
	v_sub_f16_e32 v32, v30, v32
	v_sub_f16_e32 v71, v102, v117
	v_sub_f16_e32 v35, v33, v35
	v_sub_f16_e32 v72, v104, v119
	v_sub_f16_e32 v36, v34, v36
	v_sub_f16_e32 v74, v106, v121
	v_pack_b32_f16 v10, v10, v38
	v_fma_f16 v9, v9, 2.0, -v11
	v_fma_f16 v38, v75, 2.0, -v40
	v_pack_b32_f16 v8, v8, v39
	v_fma_f16 v12, v12, 2.0, -v25
	v_fma_f16 v73, v73, 2.0, -v42
	v_fma_f16 v13, v13, 2.0, -v26
	v_fma_f16 v75, v98, 2.0, -v69
	v_fma_f16 v29, v29, 2.0, -v31
	v_fma_f16 v97, v100, 2.0, -v70
	v_fma_f16 v30, v30, 2.0, -v32
	v_fma_f16 v98, v102, 2.0, -v71
	v_fma_f16 v33, v33, 2.0, -v35
	v_fma_f16 v99, v104, 2.0, -v72
	v_fma_f16 v34, v34, 2.0, -v36
	v_fma_f16 v100, v106, 2.0, -v74
	v_pack_b32_f16 v11, v11, v40
	ds_store_2addr_b32 v87, v8, v10 offset1:17
	v_pack_b32_f16 v8, v9, v38
	v_pack_b32_f16 v25, v25, v42
	v_pack_b32_f16 v9, v12, v73
	v_pack_b32_f16 v26, v26, v69
	v_pack_b32_f16 v10, v13, v75
	v_pack_b32_f16 v31, v31, v70
	v_pack_b32_f16 v12, v29, v97
	v_pack_b32_f16 v32, v32, v71
	v_pack_b32_f16 v13, v30, v98
	s_clause 0x2
	scratch_store_b32 off, v46, off offset:8
	scratch_store_b32 off, v45, off offset:4
	scratch_store_b32 off, v43, off
	v_pack_b32_f16 v35, v35, v72
	v_pack_b32_f16 v36, v36, v74
	v_pack_b32_f16 v29, v33, v99
	v_pack_b32_f16 v30, v34, v100
	ds_store_2addr_b32 v88, v8, v11 offset1:17
	ds_store_2addr_b32 v246, v9, v25 offset1:17
	;; [unrolled: 1-line block ×7, first 2 shown]
	global_wb scope:SCOPE_SE
	s_wait_storecnt_dscnt 0x0
	s_barrier_signal -1
	s_barrier_wait -1
	global_inv scope:SCOPE_SE
	s_clause 0x7
	global_load_b32 v74, v66, s[2:3] offset:68
	global_load_b32 v73, v108, s[2:3] offset:68
	;; [unrolled: 1-line block ×8, first 2 shown]
	v_and_b32_e32 v8, 0xffff, v37
	v_mad_u16 v9, 0x44, v77, v93
	v_mad_u16 v10, 0x44, v78, v82
	v_mad_u16 v11, 0x44, v79, v94
	v_mad_u16 v12, 0x44, v80, v41
	v_mul_u32_u24_e32 v8, 0x44, v8
	v_mad_u16 v13, 0x44, v81, v95
	v_and_b32_e32 v25, 0xffff, v3
	v_and_b32_e32 v26, 0xffff, v9
	;; [unrolled: 1-line block ×4, first 2 shown]
	v_add_lshl_u32 v95, v8, v96, 2
	ds_load_2addr_b32 v[8:9], v50 offset1:102
	ds_load_2addr_b32 v[10:11], v6 offset0:48 offset1:150
	v_and_b32_e32 v35, 0xffff, v12
	v_and_b32_e32 v36, 0xffff, v13
	ds_load_2addr_b32 v[12:13], v4 offset0:76 offset1:178
	ds_load_2addr_b32 v[2:3], v2 offset0:124 offset1:226
	v_lshlrev_b32_e32 v98, 2, v25
	v_lshlrev_b32_e32 v92, 2, v26
	ds_load_2addr_b32 v[25:26], v0 offset0:152 offset1:254
	ds_load_2addr_b32 v[0:1], v1 offset0:72 offset1:174
	v_lshlrev_b32_e32 v93, 2, v29
	v_lshlrev_b32_e32 v94, 2, v30
	;; [unrolled: 4-line block ×3, first 2 shown]
	v_add_nc_u32_e32 v33, 0x600, v50
	v_add_nc_u32_e32 v34, 0x1000, v50
	global_wb scope:SCOPE_SE
	s_wait_loadcnt_dscnt 0x0
	s_barrier_signal -1
	s_barrier_wait -1
	global_inv scope:SCOPE_SE
	v_lshrrev_b32_e32 v35, 16, v8
	v_lshrrev_b32_e32 v36, 16, v10
	;; [unrolled: 1-line block ×24, first 2 shown]
	v_mul_f16_e64 v107, v36, v252
	v_mul_f16_e64 v108, v10, v252
	;; [unrolled: 1-line block ×16, first 2 shown]
	v_fma_f16 v10, v10, v74, -v107
	v_fmac_f16_e32 v108, v36, v74
	v_fma_f16 v11, v11, v73, -v109
	v_fmac_f16_e32 v110, v38, v73
	;; [unrolled: 2-line block ×8, first 2 shown]
	v_sub_f16_e32 v10, v8, v10
	v_sub_f16_e32 v36, v35, v108
	;; [unrolled: 1-line block ×16, first 2 shown]
	v_fma_f16 v8, v8, 2.0, -v10
	v_fma_f16 v35, v35, 2.0, -v36
	;; [unrolled: 1-line block ×16, first 2 shown]
	v_pack_b32_f16 v10, v10, v36
	v_pack_b32_f16 v8, v8, v35
	;; [unrolled: 1-line block ×16, first 2 shown]
	ds_store_2addr_b32 v91, v8, v10 offset1:34
	ds_store_2addr_b32 v95, v9, v11 offset1:34
	;; [unrolled: 1-line block ×8, first 2 shown]
	global_wb scope:SCOPE_SE
	s_wait_dscnt 0x0
	s_barrier_signal -1
	s_barrier_wait -1
	global_inv scope:SCOPE_SE
	ds_load_2addr_b32 v[2:3], v50 offset1:102
	ds_load_2addr_b32 v[0:1], v33 offset0:24 offset1:160
	ds_load_2addr_b32 v[12:13], v34 offset0:64 offset1:166
	;; [unrolled: 1-line block ×6, first 2 shown]
	ds_load_b32 v31, v50 offset:5984
                                        ; implicit-def: $vgpr32
                                        ; implicit-def: $vgpr33
	s_and_saveexec_b32 s1, s0
	s_cbranch_execz .LBB0_9
; %bb.8:
	ds_load_b32 v29, v50 offset:2040
	ds_load_b32 v27, v50 offset:4216
	;; [unrolled: 1-line block ×3, first 2 shown]
	s_wait_dscnt 0x2
	v_lshrrev_b32_e32 v30, 16, v29
	s_wait_dscnt 0x1
	v_lshrrev_b32_e32 v28, 16, v27
	;; [unrolled: 2-line block ×3, first 2 shown]
.LBB0_9:
	s_wait_alu 0xfffe
	s_or_b32 exec_lo, exec_lo, s1
	v_add_co_u32 v25, s1, 0xffffffbc, v48
	s_wait_alu 0xf1ff
	v_add_co_ci_u32_e64 v26, null, 0, -1, s1
	v_cmp_gt_u16_e64 s1, 0x44, v48
	v_lshrrev_b32_e32 v37, 22, v20
	v_mul_lo_u16 v21, 0x79, v21
	v_lshrrev_b32_e32 v39, 22, v24
	v_lshrrev_b32_e32 v41, 22, v23
	s_wait_alu 0xf1ff
	v_cndmask_b32_e64 v34, v25, v48, s1
	v_mul_lo_u16 v25, 0x44, v37
	v_lshrrev_b16 v38, 13, v21
	v_cndmask_b32_e64 v35, v26, 0, s1
	s_wait_dscnt 0x5
	v_lshrrev_b32_e32 v107, 16, v12
	s_wait_dscnt 0x4
	v_lshrrev_b32_e32 v108, 16, v10
	v_sub_nc_u16 v40, v18, v25
	v_mul_lo_u16 v18, 0x44, v39
	v_mul_lo_u16 v26, 0x44, v38
	v_lshlrev_b64_e32 v[20:21], 3, v[34:35]
	v_and_b32_e32 v38, 0xffff, v38
	v_mad_u16 v37, 0xcc, v37, v40
	v_sub_nc_u16 v99, v17, v18
	v_mul_lo_u16 v17, 0x44, v41
	v_lshrrev_b32_e32 v18, 22, v22
	v_sub_nc_u16 v16, v16, v26
	v_add_co_u32 v20, s1, s2, v20
	s_delay_alu instid0(VALU_DEP_4) | instskip(NEXT) | instid1(VALU_DEP_4)
	v_sub_nc_u16 v100, v15, v17
	v_mul_lo_u16 v17, 0x44, v18
	s_delay_alu instid0(VALU_DEP_4)
	v_and_b32_e32 v42, 0xff, v16
	v_lshlrev_b16 v16, 3, v40
	v_lshlrev_b16 v23, 3, v99
	;; [unrolled: 1-line block ×3, first 2 shown]
	v_sub_nc_u16 v101, v19, v17
	s_wait_alu 0xf1ff
	v_add_co_ci_u32_e64 v21, s1, s3, v21, s1
	v_and_b32_e32 v16, 0xffff, v16
	v_and_b32_e32 v18, 0xffff, v23
	v_lshlrev_b16 v19, 3, v101
	v_lshlrev_b32_e32 v22, 3, v42
	v_and_b32_e32 v17, 0xffff, v35
	v_add_co_u32 v15, s1, s2, v16
	s_wait_alu 0xf1ff
	v_add_co_ci_u32_e64 v16, null, s3, 0, s1
	v_and_b32_e32 v19, 0xffff, v19
	s_clause 0x2
	global_load_b64 v[25:26], v[20:21], off offset:204
	global_load_b64 v[23:24], v22, s[2:3] offset:204
	global_load_b64 v[21:22], v[15:16], off offset:204
	v_add_co_u32 v15, s1, s2, v18
	s_wait_alu 0xf1ff
	v_add_co_ci_u32_e64 v16, null, s3, 0, s1
	v_add_co_u32 v17, s1, s2, v17
	s_wait_alu 0xf1ff
	v_add_co_ci_u32_e64 v18, null, s3, 0, s1
	v_add_co_u32 v35, s1, s2, v19
	s_wait_alu 0xf1ff
	v_add_co_ci_u32_e64 v36, null, s3, 0, s1
	s_clause 0x2
	global_load_b64 v[19:20], v[15:16], off offset:204
	global_load_b64 v[17:18], v[17:18], off offset:204
	;; [unrolled: 1-line block ×3, first 2 shown]
	v_cmp_lt_u16_e64 s1, 0x43, v48
	v_mad_u16 v39, 0xcc, v39, v99
	v_mad_u16 v40, 0xcc, v41, v100
	v_and_b32_e32 v37, 0xffff, v37
	v_lshrrev_b32_e32 v36, 16, v1
	s_wait_alu 0xf1ff
	v_cndmask_b32_e64 v102, 0, 0xcc, s1
	v_lshrrev_b32_e32 v109, 16, v13
	v_and_b32_e32 v99, 0xffff, v101
	v_lshrrev_b32_e32 v112, 16, v11
	s_wait_dscnt 0x2
	v_lshrrev_b32_e32 v113, 16, v8
	v_add_lshl_u32 v104, v34, v102, 2
	v_mul_u32_u24_e32 v34, 0xcc, v38
	v_and_b32_e32 v38, 0xffff, v39
	v_and_b32_e32 v39, 0xffff, v40
	v_lshlrev_b32_e32 v102, 2, v37
	s_wait_dscnt 0x1
	v_lshrrev_b32_e32 v115, 16, v6
	v_add_lshl_u32 v106, v34, v42, 2
	v_lshlrev_b32_e32 v101, 2, v38
	v_lshlrev_b32_e32 v100, 2, v39
	v_lshrrev_b32_e32 v116, 16, v9
	v_lshrrev_b32_e32 v35, 16, v2
	;; [unrolled: 1-line block ×3, first 2 shown]
	s_wait_dscnt 0x0
	v_lshrrev_b32_e32 v120, 16, v31
	v_lshrrev_b32_e32 v110, 16, v3
	;; [unrolled: 1-line block ×5, first 2 shown]
	global_wb scope:SCOPE_SE
	s_wait_loadcnt 0x0
	s_barrier_signal -1
	s_barrier_wait -1
	global_inv scope:SCOPE_SE
	v_lshrrev_b32_e32 v37, 16, v25
	v_lshrrev_b32_e32 v39, 16, v26
	;; [unrolled: 1-line block ×5, first 2 shown]
	v_mul_f16_e32 v34, v36, v37
	v_mul_f16_e32 v37, v1, v37
	;; [unrolled: 1-line block ×4, first 2 shown]
	v_lshrrev_b32_e32 v255, 16, v22
	v_fma_f16 v34, v1, v25, -v34
	v_fmac_f16_e32 v37, v36, v25
	v_fma_f16 v36, v12, v26, -v38
	v_fmac_f16_e32 v39, v107, v26
	v_lshrrev_b32_e32 v254, 16, v19
	v_lshrrev_b32_e32 v253, 16, v20
	;; [unrolled: 1-line block ×6, first 2 shown]
	v_mul_f16_e32 v38, v108, v40
	v_mul_f16_e32 v40, v10, v40
	;; [unrolled: 1-line block ×6, first 2 shown]
	v_mul_f16_e64 v124, v113, v255
	v_mul_f16_e64 v126, v8, v255
	;; [unrolled: 1-line block ×11, first 2 shown]
	v_mul_f16_e32 v12, v27, v105
	v_mul_f16_e64 v142, v33, v103
	v_mul_f16_e32 v1, v32, v103
	v_add_f16_e64 v144, v34, v36
	v_sub_f16_e64 v145, v37, v39
	v_add_f16_e64 v146, v35, v37
	v_add_f16_e32 v37, v37, v39
	v_fma_f16 v10, v10, v23, -v38
	v_fmac_f16_e32 v40, v108, v23
	v_fma_f16 v13, v13, v24, -v41
	v_fmac_f16_e32 v42, v109, v24
	;; [unrolled: 2-line block ×4, first 2 shown]
	v_fma_f16 v38, v6, v19, -v133
	v_fmac_f16_e64 v134, v115, v19
	v_fma_f16 v9, v9, v20, -v135
	v_fmac_f16_e64 v136, v116, v20
	v_add_f16_e64 v143, v2, v34
	v_sub_f16_e32 v34, v34, v36
	v_fma_f16 v41, v7, v17, -v137
	v_fmac_f16_e64 v138, v118, v17
	v_fma_f16 v31, v31, v18, -v139
	v_fmac_f16_e64 v140, v120, v18
	v_fma_f16 v7, v27, v15, -v141
	v_fmac_f16_e32 v12, v28, v15
	v_fma_f16 v6, v32, v16, -v142
	v_fmac_f16_e32 v1, v33, v16
	v_fma_f16 v2, -0.5, v144, v2
	v_add_f16_e64 v28, v146, v39
	v_fmac_f16_e32 v35, -0.5, v37
	v_add_f16_e32 v33, v10, v13
	v_add_f16_e32 v39, v40, v42
	;; [unrolled: 1-line block ×5, first 2 shown]
	v_add_f16_e64 v120, v134, v136
	v_add_f16_e64 v27, v143, v36
	v_add_f16_e32 v32, v3, v10
	v_sub_f16_e32 v36, v40, v42
	v_add_f16_e32 v37, v110, v40
	v_sub_f16_e32 v10, v10, v13
	v_add_f16_e32 v108, v111, v122
	v_add_f16_e32 v124, v41, v31
	v_add_f16_e64 v135, v138, v140
	v_add_f16_e64 v137, v7, v6
	;; [unrolled: 1-line block ×3, first 2 shown]
	v_fma_f16 v142, 0x3aee, v145, v2
	v_fmac_f16_e64 v2, 0xbaee, v145
	v_fma_f16 v143, 0xbaee, v34, v35
	v_fmac_f16_e32 v35, 0x3aee, v34
	v_fmac_f16_e32 v3, -0.5, v33
	v_fmac_f16_e32 v110, -0.5, v39
	v_add_f16_e32 v40, v4, v11
	v_sub_f16_e32 v112, v122, v126
	v_sub_f16_e32 v11, v11, v8
	v_fma_f16 v4, -0.5, v107, v4
	v_fmac_f16_e32 v111, -0.5, v109
	v_add_f16_e32 v113, v5, v38
	v_sub_f16_e64 v116, v134, v136
	v_add_f16_e64 v118, v114, v134
	v_sub_f16_e32 v38, v38, v9
	v_fmac_f16_e32 v5, -0.5, v115
	v_fmac_f16_e32 v114, -0.5, v120
	v_add_f16_e32 v122, v0, v41
	v_sub_f16_e64 v133, v138, v140
	v_add_f16_e64 v134, v117, v138
	v_sub_f16_e32 v41, v41, v31
	v_sub_f16_e64 v138, v12, v1
	v_sub_f16_e64 v141, v7, v6
	v_pack_b32_f16 v27, v27, v28
	v_add_f16_e32 v13, v32, v13
	v_add_f16_e32 v28, v37, v42
	;; [unrolled: 1-line block ×3, first 2 shown]
	v_fmac_f16_e32 v0, -0.5, v124
	v_fmac_f16_e64 v117, -0.5, v135
	v_fma_f16 v108, -0.5, v137, v29
	v_fma_f16 v109, -0.5, v139, v30
	v_pack_b32_f16 v37, v142, v143
	v_pack_b32_f16 v2, v2, v35
	v_fmamk_f16 v35, v36, 0x3aee, v3
	v_fmac_f16_e32 v3, 0xbaee, v36
	v_fmamk_f16 v36, v10, 0xbaee, v110
	v_fmac_f16_e32 v110, 0x3aee, v10
	v_add_f16_e32 v8, v40, v8
	v_fmamk_f16 v10, v112, 0x3aee, v4
	v_fmamk_f16 v39, v11, 0xbaee, v111
	v_fmac_f16_e32 v4, 0xbaee, v112
	v_fmac_f16_e32 v111, 0x3aee, v11
	v_add_f16_e32 v9, v113, v9
	v_add_f16_e64 v33, v118, v136
	v_fmamk_f16 v11, v116, 0x3aee, v5
	v_fmamk_f16 v40, v38, 0xbaee, v114
	v_add_f16_e32 v31, v122, v31
	v_add_f16_e64 v34, v134, v140
	v_fmac_f16_e32 v5, 0xbaee, v116
	v_fmac_f16_e32 v114, 0x3aee, v38
	v_fma_f16 v38, 0x3aee, v133, v0
	v_fmac_f16_e64 v0, 0xbaee, v133
	v_fmamk_f16 v42, v41, 0xbaee, v117
	v_fmac_f16_e32 v117, 0x3aee, v41
	v_fma_f16 v133, 0x3aee, v138, v108
	v_fmac_f16_e64 v108, 0xbaee, v138
	v_fma_f16 v43, 0xbaee, v141, v109
	v_fmac_f16_e64 v109, 0x3aee, v141
	v_pack_b32_f16 v13, v13, v28
	ds_store_2addr_b32 v104, v27, v37 offset1:68
	ds_store_b32 v104, v2 offset:544
	v_pack_b32_f16 v2, v35, v36
	v_pack_b32_f16 v3, v3, v110
	;; [unrolled: 1-line block ×11, first 2 shown]
	ds_store_2addr_b32 v106, v13, v2 offset1:68
	ds_store_b32 v106, v3 offset:544
	ds_store_2addr_b32 v102, v8, v10 offset1:68
	ds_store_b32 v102, v4 offset:544
	;; [unrolled: 2-line block ×4, first 2 shown]
	s_and_saveexec_b32 s1, s0
	s_cbranch_execz .LBB0_11
; %bb.10:
	v_add_f16_e32 v0, v30, v12
	v_add_f16_e32 v2, v29, v7
	v_lshlrev_b32_e32 v3, 2, v99
	s_delay_alu instid0(VALU_DEP_3) | instskip(NEXT) | instid1(VALU_DEP_3)
	v_add_f16_e32 v0, v0, v1
	v_add_f16_e32 v1, v2, v6
	v_perm_b32 v2, v43, v133, 0x5040100
	s_delay_alu instid0(VALU_DEP_4) | instskip(NEXT) | instid1(VALU_DEP_3)
	v_add_nc_u32_e32 v4, 0x1400, v3
	v_pack_b32_f16 v0, v1, v0
	v_perm_b32 v1, v109, v108, 0x5040100
	ds_store_2addr_b32 v4, v0, v2 offset0:148 offset1:216
	ds_store_b32 v3, v1 offset:6256
.LBB0_11:
	s_wait_alu 0xfffe
	s_or_b32 exec_lo, exec_lo, s1
	v_mad_co_u64_u32 v[8:9], null, v48, 28, s[2:3]
	global_wb scope:SCOPE_SE
	s_wait_dscnt 0x0
	s_barrier_signal -1
	s_barrier_wait -1
	global_inv scope:SCOPE_SE
	v_add_nc_u32_e32 v135, 0x200, v50
	v_add_nc_u32_e32 v136, 0x400, v50
	s_clause 0x3
	global_load_b128 v[4:7], v[8:9], off offset:748
	global_load_b96 v[11:13], v[8:9], off offset:764
	global_load_b128 v[0:3], v[8:9], off offset:3604
	global_load_b96 v[8:10], v[8:9], off offset:3620
	v_add_nc_u32_e32 v153, 0x800, v50
	v_add_nc_u32_e32 v154, 0xc00, v50
	;; [unrolled: 1-line block ×3, first 2 shown]
	ds_load_2addr_b32 v[27:28], v50 offset1:102
	v_add_nc_u32_e32 v156, 0x1200, v50
	v_add_nc_u32_e32 v157, 0x1400, v50
	ds_load_2addr_b32 v[29:30], v135 offset0:76 offset1:178
	ds_load_2addr_b32 v[31:32], v136 offset0:152 offset1:254
	;; [unrolled: 1-line block ×7, first 2 shown]
	s_wait_dscnt 0x6
	v_lshrrev_b32_e32 v139, 16, v29
	s_wait_dscnt 0x5
	v_lshrrev_b32_e32 v140, 16, v31
	;; [unrolled: 2-line block ×7, first 2 shown]
	v_lshrrev_b32_e32 v146, 16, v30
	v_lshrrev_b32_e32 v147, 16, v32
	v_lshrrev_b32_e32 v148, 16, v34
	v_lshrrev_b32_e32 v149, 16, v36
	v_lshrrev_b32_e32 v150, 16, v38
	v_lshrrev_b32_e32 v151, 16, v40
	v_lshrrev_b32_e32 v152, 16, v42
	v_lshrrev_b32_e32 v137, 16, v27
	v_lshrrev_b32_e32 v138, 16, v28
	s_wait_loadcnt 0x3
	v_lshrrev_b32_e32 v126, 16, v4
	v_lshrrev_b32_e32 v124, 16, v5
	;; [unrolled: 1-line block ×4, first 2 shown]
	s_wait_loadcnt 0x2
	v_lshrrev_b32_e32 v118, 16, v11
	v_lshrrev_b32_e32 v117, 16, v12
	;; [unrolled: 1-line block ×3, first 2 shown]
	s_wait_loadcnt 0x1
	v_lshrrev_b32_e32 v115, 16, v0
	v_lshrrev_b32_e32 v114, 16, v1
	;; [unrolled: 1-line block ×4, first 2 shown]
	s_wait_loadcnt 0x0
	v_lshrrev_b32_e32 v111, 16, v8
	v_lshrrev_b32_e32 v110, 16, v9
	;; [unrolled: 1-line block ×3, first 2 shown]
	v_mul_f16_e64 v158, v139, v126
	v_mul_f16_e64 v159, v29, v126
	;; [unrolled: 1-line block ×28, first 2 shown]
	v_fma_f16 v29, v29, v4, -v158
	v_fmac_f16_e64 v159, v139, v4
	v_fma_f16 v31, v31, v5, -v160
	v_fmac_f16_e64 v161, v140, v5
	;; [unrolled: 2-line block ×14, first 2 shown]
	v_sub_f16_e32 v35, v27, v35
	v_sub_f16_e64 v139, v137, v165
	v_sub_f16_e32 v39, v31, v39
	v_sub_f16_e64 v140, v161, v169
	;; [unrolled: 2-line block ×8, first 2 shown]
	v_fma_f16 v27, v27, 2.0, -v35
	v_fma_f16 v147, v137, 2.0, -v139
	;; [unrolled: 1-line block ×8, first 2 shown]
	v_sub_f16_e64 v150, v35, v140
	v_add_f16_e64 v39, v139, v39
	v_sub_f16_e64 v140, v37, v142
	v_fma_f16 v151, v28, 2.0, -v36
	v_fma_f16 v152, v138, 2.0, -v143
	v_fma_f16 v28, v32, 2.0, -v40
	v_fma_f16 v142, v175, 2.0, -v144
	v_fma_f16 v30, v30, 2.0, -v38
	v_fma_f16 v158, v173, 2.0, -v145
	v_fma_f16 v34, v34, 2.0, -v42
	v_fma_f16 v159, v177, 2.0, -v146
	v_add_f16_e64 v41, v141, v41
	v_sub_f16_e64 v144, v36, v144
	v_add_f16_e64 v160, v143, v40
	v_sub_f16_e64 v40, v38, v146
	;; [unrolled: 2-line block ×3, first 2 shown]
	v_sub_f16_e64 v162, v147, v137
	v_fma_f16 v163, v35, 2.0, -v150
	v_fma_f16 v164, v139, 2.0, -v39
	v_sub_f16_e32 v33, v29, v33
	v_sub_f16_e64 v31, v148, v149
	v_fma_f16 v37, v37, 2.0, -v140
	v_fma_f16 v32, 0x39a8, v140, v150
	v_sub_f16_e64 v149, v151, v28
	v_sub_f16_e64 v165, v152, v142
	v_sub_f16_e32 v35, v30, v34
	v_sub_f16_e64 v139, v158, v159
	v_fma_f16 v141, v141, 2.0, -v41
	v_fma_f16 v138, 0x39a8, v41, v39
	v_fma_f16 v166, v36, 2.0, -v144
	v_fma_f16 v167, v143, 2.0, -v160
	;; [unrolled: 1-line block ×4, first 2 shown]
	v_fma_f16 v28, 0x39a8, v40, v144
	v_fma_f16 v137, 0x39a8, v42, v160
	v_fma_f16 v168, v27, 2.0, -v161
	v_fma_f16 v169, v147, 2.0, -v162
	;; [unrolled: 1-line block ×4, first 2 shown]
	v_fma_f16 v36, 0xb9a8, v37, v163
	v_fmac_f16_e32 v32, 0xb9a8, v41
	v_fma_f16 v41, v151, 2.0, -v149
	v_fma_f16 v170, v152, 2.0, -v165
	;; [unrolled: 1-line block ×4, first 2 shown]
	v_fma_f16 v143, 0xb9a8, v141, v164
	v_sub_f16_e64 v31, v161, v31
	v_add_f16_e64 v142, v162, v33
	v_fmac_f16_e64 v138, 0x39a8, v140
	v_fma_f16 v34, 0xb9a8, v159, v166
	v_fma_f16 v140, 0xb9a8, v145, v167
	v_sub_f16_e64 v27, v149, v139
	v_add_f16_e64 v139, v165, v35
	v_fmac_f16_e32 v28, 0xb9a8, v42
	v_fmac_f16_e64 v137, 0x39a8, v40
	v_sub_f16_e64 v35, v168, v29
	v_sub_f16_e64 v146, v169, v38
	v_fmac_f16_e64 v36, 0xb9a8, v141
	v_sub_f16_e32 v33, v41, v30
	v_sub_f16_e64 v141, v170, v151
	v_fmac_f16_e64 v143, 0x39a8, v37
	v_fma_f16 v37, v161, 2.0, -v31
	v_fma_f16 v148, v162, 2.0, -v142
	;; [unrolled: 1-line block ×3, first 2 shown]
	v_fmac_f16_e64 v34, 0xb9a8, v145
	v_fmac_f16_e64 v140, 0x39a8, v159
	v_fma_f16 v39, v149, 2.0, -v27
	v_fma_f16 v145, v165, 2.0, -v139
	;; [unrolled: 1-line block ×5, first 2 shown]
	v_pack_b32_f16 v158, v31, v142
	v_pack_b32_f16 v160, v27, v139
	v_fma_f16 v29, v168, 2.0, -v35
	v_fma_f16 v151, v169, 2.0, -v146
	;; [unrolled: 1-line block ×4, first 2 shown]
	v_pack_b32_f16 v159, v32, v138
	v_pack_b32_f16 v161, v28, v137
	v_fma_f16 v30, v163, 2.0, -v36
	v_fma_f16 v152, v164, 2.0, -v143
	;; [unrolled: 1-line block ×4, first 2 shown]
	v_pack_b32_f16 v162, v37, v148
	v_pack_b32_f16 v166, v39, v145
	;; [unrolled: 1-line block ×8, first 2 shown]
	ds_store_2addr_b32 v156, v158, v160 offset0:72 offset1:174
	ds_store_2addr_b32 v157, v159, v161 offset0:148 offset1:250
	v_pack_b32_f16 v156, v29, v151
	v_pack_b32_f16 v158, v41, v150
	v_pack_b32_f16 v157, v30, v152
	v_pack_b32_f16 v159, v42, v149
	ds_store_2addr_b32 v136, v162, v166 offset0:152 offset1:254
	ds_store_2addr_b32 v153, v163, v167 offset0:100 offset1:202
	;; [unrolled: 1-line block ×4, first 2 shown]
	ds_store_2addr_b32 v50, v156, v158 offset1:102
	ds_store_2addr_b32 v135, v157, v159 offset0:76 offset1:178
	global_wb scope:SCOPE_SE
	s_wait_dscnt 0x0
	s_barrier_signal -1
	s_barrier_wait -1
	global_inv scope:SCOPE_SE
	s_and_saveexec_b32 s1, vcc_lo
	s_cbranch_execz .LBB0_13
; %bb.12:
	global_load_b32 v135, v44, s[12:13] offset:6528
	s_add_nc_u64 s[2:3], s[12:13], 0x1980
	s_clause 0xf
	global_load_b32 v167, v44, s[2:3] offset:384
	global_load_b32 v168, v44, s[2:3] offset:768
	;; [unrolled: 1-line block ×16, first 2 shown]
	ds_load_b32 v136, v50
	v_add_nc_u32_e32 v183, 0x400, v44
	v_add_nc_u32_e32 v184, 0x600, v44
	;; [unrolled: 1-line block ×7, first 2 shown]
	s_wait_dscnt 0x0
	v_lshrrev_b32_e32 v153, 16, v136
	s_wait_loadcnt 0xf
	v_lshrrev_b32_e32 v190, 16, v167
	s_wait_loadcnt 0xe
	;; [unrolled: 2-line block ×12, first 2 shown]
	v_lshrrev_b32_e32 v201, 16, v178
	v_lshrrev_b32_e32 v154, 16, v135
	s_wait_loadcnt 0x3
	v_lshrrev_b32_e32 v202, 16, v179
	s_wait_loadcnt 0x2
	;; [unrolled: 2-line block ×4, first 2 shown]
	v_lshrrev_b32_e32 v205, 16, v182
	v_mul_f16_e64 v155, v153, v154
	v_mul_f16_e64 v154, v136, v154
	s_delay_alu instid0(VALU_DEP_2) | instskip(NEXT) | instid1(VALU_DEP_2)
	v_fma_f16 v136, v136, v135, -v155
	v_fmac_f16_e64 v154, v153, v135
	s_delay_alu instid0(VALU_DEP_1)
	v_pack_b32_f16 v135, v136, v154
	ds_store_b32 v50, v135
	ds_load_2addr_b32 v[135:136], v44 offset0:96 offset1:192
	ds_load_2addr_b32 v[153:154], v183 offset0:32 offset1:128
	;; [unrolled: 1-line block ×8, first 2 shown]
	s_wait_dscnt 0x7
	v_lshrrev_b32_e32 v206, 16, v135
	v_lshrrev_b32_e32 v208, 16, v136
	s_wait_dscnt 0x6
	v_lshrrev_b32_e32 v210, 16, v153
	v_lshrrev_b32_e32 v212, 16, v154
	;; [unrolled: 3-line block ×5, first 2 shown]
	v_mul_f16_e64 v207, v135, v190
	v_mul_f16_e64 v209, v136, v191
	s_wait_dscnt 0x2
	v_lshrrev_b32_e32 v226, 16, v161
	v_lshrrev_b32_e32 v228, 16, v162
	s_wait_dscnt 0x1
	v_lshrrev_b32_e32 v230, 16, v163
	v_lshrrev_b32_e32 v232, 16, v164
	;; [unrolled: 3-line block ×3, first 2 shown]
	v_mul_f16_e64 v190, v206, v190
	v_mul_f16_e64 v191, v208, v191
	;; [unrolled: 1-line block ×24, first 2 shown]
	v_fmac_f16_e64 v207, v206, v167
	v_fmac_f16_e64 v209, v208, v168
	v_mul_f16_e64 v200, v226, v200
	v_mul_f16_e64 v201, v228, v201
	;; [unrolled: 1-line block ×6, first 2 shown]
	v_fma_f16 v135, v135, v167, -v190
	v_fma_f16 v136, v136, v168, -v191
	v_fmac_f16_e64 v211, v210, v169
	v_fmac_f16_e64 v213, v212, v170
	v_fma_f16 v153, v153, v169, -v192
	v_fma_f16 v154, v154, v170, -v193
	v_fmac_f16_e64 v215, v214, v171
	v_fmac_f16_e64 v217, v216, v172
	;; [unrolled: 4-line block ×5, first 2 shown]
	v_fmac_f16_e64 v231, v230, v179
	v_fmac_f16_e64 v233, v232, v180
	;; [unrolled: 1-line block ×4, first 2 shown]
	v_fma_f16 v161, v161, v177, -v200
	v_fma_f16 v162, v162, v178, -v201
	;; [unrolled: 1-line block ×6, first 2 shown]
	v_pack_b32_f16 v135, v135, v207
	v_pack_b32_f16 v136, v136, v209
	;; [unrolled: 1-line block ×16, first 2 shown]
	ds_store_2addr_b32 v44, v135, v136 offset0:96 offset1:192
	ds_store_2addr_b32 v183, v153, v154 offset0:32 offset1:128
	ds_store_2addr_b32 v184, v155, v156 offset0:96 offset1:192
	ds_store_2addr_b32 v185, v157, v158 offset0:32 offset1:128
	ds_store_2addr_b32 v186, v159, v160 offset0:96 offset1:192
	ds_store_2addr_b32 v187, v161, v162 offset0:32 offset1:128
	ds_store_2addr_b32 v188, v163, v164 offset0:96 offset1:192
	ds_store_2addr_b32 v189, v165, v166 offset0:32 offset1:128
.LBB0_13:
	s_wait_alu 0xfffe
	s_or_b32 exec_lo, exec_lo, s1
	global_wb scope:SCOPE_SE
	s_wait_dscnt 0x0
	s_barrier_signal -1
	s_barrier_wait -1
	global_inv scope:SCOPE_SE
	s_and_saveexec_b32 s1, vcc_lo
	s_cbranch_execz .LBB0_15
; %bb.14:
	v_add_nc_u32_e32 v27, 0x200, v50
	v_add_nc_u32_e32 v28, 0x400, v50
	;; [unrolled: 1-line block ×4, first 2 shown]
	ds_load_2addr_b32 v[29:30], v50 offset1:96
	ds_load_2addr_b32 v[37:38], v27 offset0:64 offset1:160
	v_add_nc_u32_e32 v27, 0xc00, v50
	ds_load_2addr_b32 v[35:36], v28 offset0:128 offset1:224
	v_add_nc_u32_e32 v28, 0xe00, v50
	ds_load_2addr_b32 v[31:32], v31 offset0:64 offset1:160
	ds_load_2addr_b32 v[41:42], v27 offset1:96
	v_add_nc_u32_e32 v27, 0x1400, v50
	ds_load_2addr_b32 v[39:40], v28 offset0:64 offset1:160
	ds_load_2addr_b32 v[33:34], v33 offset0:128 offset1:224
	;; [unrolled: 1-line block ×3, first 2 shown]
	ds_load_b32 v133, v50 offset:6144
	s_wait_dscnt 0x8
	v_lshrrev_b32_e32 v151, 16, v29
	v_lshrrev_b32_e32 v152, 16, v30
	s_wait_dscnt 0x7
	v_lshrrev_b32_e32 v148, 16, v37
	v_lshrrev_b32_e32 v147, 16, v38
	s_wait_dscnt 0x6
	v_lshrrev_b32_e32 v146, 16, v35
	v_lshrrev_b32_e32 v143, 16, v36
	s_wait_dscnt 0x5
	v_lshrrev_b32_e32 v142, 16, v31
	v_lshrrev_b32_e32 v138, 16, v32
	s_wait_dscnt 0x4
	v_lshrrev_b32_e32 v150, 16, v41
	v_lshrrev_b32_e32 v149, 16, v42
	s_wait_dscnt 0x3
	v_lshrrev_b32_e32 v145, 16, v39
	v_lshrrev_b32_e32 v144, 16, v40
	s_wait_dscnt 0x2
	v_lshrrev_b32_e32 v141, 16, v33
	v_lshrrev_b32_e32 v140, 16, v34
	s_wait_dscnt 0x1
	v_lshrrev_b32_e32 v139, 16, v27
	v_lshrrev_b32_e32 v137, 16, v28
	s_wait_dscnt 0x0
	v_lshrrev_b32_e32 v43, 16, v133
.LBB0_15:
	s_wait_alu 0xfffe
	s_or_b32 exec_lo, exec_lo, s1
	s_delay_alu instid0(VALU_DEP_1)
	v_sub_f16_e64 v200, v152, v43
	v_add_f16_e64 v173, v43, v152
	v_add_f16_e64 v198, v133, v30
	v_sub_f16_e64 v165, v30, v133
	v_sub_f16_e64 v191, v148, v137
	v_mul_f16_e64 v199, 0xb5c8, v200
	v_mul_f16_e64 v46, 0x3b76, v173
	v_add_f16_e64 v178, v137, v148
	v_add_f16_e64 v153, v28, v37
	v_sub_f16_e32 v49, v37, v28
	v_fma_f16 v135, v198, 0x3b76, -v199
	v_fma_f16 v136, 0xb5c8, v165, v46
	v_mul_f16_e64 v47, 0xb964, v191
	v_mul_f16_e64 v59, 0x39e9, v178
	v_sub_f16_e64 v192, v147, v139
	v_add_f16_e64 v183, v139, v147
	v_add_f16_e64 v135, v29, v135
	;; [unrolled: 1-line block ×3, first 2 shown]
	v_fma_f16 v161, v153, 0x39e9, -v47
	v_fma_f16 v163, 0xb964, v49, v59
	v_add_f16_e64 v159, v27, v38
	v_mul_f16_e64 v60, 0xbb29, v192
	v_sub_f16_e32 v123, v38, v27
	v_mul_f16_e64 v62, 0x3722, v183
	v_sub_f16_e64 v193, v146, v140
	v_add_f16_e64 v186, v140, v146
	v_add_f16_e64 v135, v161, v135
	;; [unrolled: 1-line block ×3, first 2 shown]
	v_fma_f16 v167, v159, 0x3722, -v60
	v_fma_f16 v168, 0xbb29, v123, v62
	v_add_f16_e64 v163, v34, v35
	v_sub_f16_e32 v64, v35, v34
	v_mul_f16_e64 v63, 0xbbf7, v193
	v_mul_f16_e64 v51, 0x2de8, v186
	v_sub_f16_e64 v194, v143, v141
	v_add_f16_e64 v187, v141, v143
	v_add_f16_e64 v135, v167, v135
	;; [unrolled: 1-line block ×3, first 2 shown]
	v_fma_f16 v169, v163, 0x2de8, -v63
	v_fma_f16 v171, 0xbbf7, v64, v51
	v_add_f16_e64 v167, v33, v36
	v_mul_f16_e64 v65, 0xbbb2, v194
	v_sub_f16_e32 v52, v36, v33
	v_mul_f16_e64 v68, 0xb461, v187
	v_sub_f16_e64 v195, v142, v144
	v_add_f16_e64 v188, v144, v142
	v_add_f16_e64 v135, v169, v135
	;; [unrolled: 1-line block ×3, first 2 shown]
	v_fma_f16 v176, v167, 0xb461, -v65
	v_fma_f16 v177, 0xbbb2, v52, v68
	v_add_f16_e64 v171, v40, v31
	v_sub_f16_e64 v174, v31, v40
	v_mul_f16_e64 v75, 0xba62, v195
	v_mul_f16_e64 v76, 0xb8d2, v188
	v_sub_f16_e64 v197, v138, v145
	v_add_f16_e64 v189, v145, v138
	v_add_f16_e64 v135, v176, v135
	;; [unrolled: 1-line block ×3, first 2 shown]
	v_fma_f16 v179, v171, 0xb8d2, -v75
	v_fma_f16 v182, 0xba62, v174, v76
	v_add_f16_e64 v176, v39, v32
	v_mul_f16_e64 v77, 0xb836, v197
	v_sub_f16_e64 v180, v32, v39
	v_mul_f16_e64 v78, 0xbacd, v189
	v_sub_f16_e64 v196, v150, v149
	v_add_f16_e64 v190, v149, v150
	v_add_f16_e64 v135, v179, v135
	v_add_f16_e64 v136, v182, v136
	v_fma_f16 v201, v176, 0xbacd, -v77
	v_fma_f16 v202, 0xb836, v180, v78
	v_add_f16_e64 v179, v42, v41
	v_sub_f16_e64 v184, v41, v42
	v_mul_f16_e64 v79, 0xb1e1, v196
	v_mul_f16_e64 v80, 0xbbdd, v190
	v_add_f16_e64 v135, v201, v135
	v_add_f16_e64 v136, v202, v136
	global_wb scope:SCOPE_SE
	v_fma_f16 v201, v179, 0xbbdd, -v79
	v_fma_f16 v202, 0xb1e1, v184, v80
	s_barrier_signal -1
	s_barrier_wait -1
	global_inv scope:SCOPE_SE
	v_add_f16_e64 v134, v201, v135
	v_add_f16_e64 v161, v202, v136
	s_and_saveexec_b32 s1, vcc_lo
	s_cbranch_execz .LBB0_17
; %bb.16:
	v_add_f16_e32 v30, v30, v29
	v_mul_f16_e64 v205, 0xbbf7, v191
	v_mul_f16_e64 v209, 0xba62, v192
	v_mul_f16_e64 v211, 0xb1e1, v193
	v_mul_f16_e64 v213, 0x3836, v194
	v_add_f16_e32 v30, v37, v30
	v_mul_f16_e64 v37, 0xba62, v200
	v_mul_f16_e64 v214, 0x3bb2, v195
	v_mul_f16_e64 v215, 0xbb29, v165
	v_mul_f16_e64 v216, 0xba62, v49
	;; [unrolled: 5-line block ×3, first 2 shown]
	v_add_f16_e32 v30, v35, v30
	v_mul_f16_e64 v35, 0xb836, v200
	v_mul_f16_e64 v221, 0xba62, v191
	v_mul_f16_e64 v230, 0xb1e1, v49
	v_mov_b32_e32 v113, v242
	v_add_f16_e32 v30, v36, v30
	v_mul_f16_e64 v36, 0xbbb2, v200
	v_mov_b32_e32 v177, v132
	v_fma_f16 v231, 0xbbdd, v178, v230
	v_dual_mov_b32 v185, v251 :: v_dual_mov_b32 v164, v43
	v_add_f16_e32 v30, v31, v30
	v_mov_b32_e32 v207, v254
	v_dual_mov_b32 v169, v49 :: v_dual_mov_b32 v156, v111
	v_mov_b32_e32 v135, v103
	s_delay_alu instid0(VALU_DEP_4) | instskip(SKIP_1) | instid1(VALU_DEP_4)
	v_add_f16_e32 v30, v32, v30
	v_mul_f16_e64 v32, 0xbb29, v200
	v_mul_f16_e64 v103, 0x3b29, v169
	v_mov_b32_e32 v111, v105
	v_dual_mov_b32 v175, v85 :: v_dual_mov_b32 v160, v88
	v_add_f16_e32 v30, v41, v30
	v_fma_f16 v41, v198, 0xb461, -v36
	v_fmac_f16_e64 v36, 0xb461, v198
	v_fma_f16 v105, 0x3722, v178, v103
	v_mov_b32_e32 v210, v124
	v_add_f16_e32 v30, v42, v30
	v_add_f16_e32 v41, v29, v41
	v_add_f16_e32 v36, v29, v36
	v_dual_mov_b32 v124, v115 :: v_dual_mov_b32 v115, v89
	s_delay_alu instid0(VALU_DEP_4) | instskip(SKIP_3) | instid1(VALU_DEP_4)
	v_add_f16_e32 v30, v39, v30
	v_fma_f16 v39, v198, 0xbacd, -v35
	v_fmac_f16_e64 v35, 0xbacd, v198
	v_dual_mov_b32 v154, v116 :: v_dual_mov_b32 v155, v119
	v_add_f16_e32 v30, v40, v30
	v_fma_f16 v40, v198, 0xb8d2, -v37
	v_fmac_f16_e64 v37, 0xb8d2, v198
	v_add_f16_e32 v39, v29, v39
	v_add_f16_e32 v35, v29, v35
	;; [unrolled: 1-line block ×3, first 2 shown]
	v_mul_f16_e64 v33, 0xb1e1, v200
	v_add_f16_e32 v40, v29, v40
	v_add_f16_e32 v37, v29, v37
	v_dual_mov_b32 v116, v90 :: v_dual_mov_b32 v119, v91
	v_add_f16_e32 v31, v34, v30
	v_mul_f16_e64 v30, 0xb964, v200
	v_mul_f16_e64 v34, 0xbbf7, v200
	v_fma_f16 v38, v198, 0xbbdd, -v33
	v_fmac_f16_e64 v33, 0xbbdd, v198
	v_fma_f16 v200, v198, 0x3722, -v32
	v_fmac_f16_e64 v32, 0x3722, v198
	;; [unrolled: 2-line block ×4, first 2 shown]
	v_mul_f16_e64 v198, 0x3b76, v198
	v_add_f16_e64 v200, v29, v200
	v_add_f16_e32 v42, v29, v42
	v_add_f16_e32 v38, v29, v38
	;; [unrolled: 1-line block ×3, first 2 shown]
	v_add_f16_e64 v198, v198, v199
	v_add_f16_e64 v199, v29, v201
	v_add_f16_e32 v34, v29, v34
	v_add_f16_e32 v32, v29, v32
	;; [unrolled: 1-line block ×3, first 2 shown]
	v_add_f16_e64 v29, v29, v198
	v_add_f16_e32 v27, v27, v31
	v_mul_f16_e64 v198, 0xb964, v165
	v_mul_f16_e64 v201, 0xbbf7, v49
	s_clause 0x1
	scratch_store_b32 off, v243, off offset:12
	scratch_store_b32 off, v47, off offset:96
	v_add_f16_e32 v27, v28, v27
	v_fma_f16 v28, 0x39e9, v173, v198
	s_clause 0x1
	scratch_store_b32 off, v32, off offset:48
	scratch_store_b32 off, v29, off offset:28
	v_fma_f16 v29, 0x2de8, v178, v201
	scratch_store_b32 off, v27, off offset:16 ; 4-byte Folded Spill
	v_add_f16_e64 v28, v151, v28
	v_mul_f16_e32 v27, 0xb1e1, v64
	v_fma_f16 v32, 0xb8d2, v178, v216
	scratch_store_b32 off, v63, off offset:100 ; 4-byte Folded Spill
	v_mov_b32_e32 v158, v120
	v_add_f16_e32 v28, v29, v28
	v_fma_f16 v29, v153, 0x2de8, -v205
	scratch_store_b32 off, v27, off offset:52 ; 4-byte Folded Spill
	v_mov_b32_e32 v120, v92
	v_dual_mov_b32 v166, v93 :: v_dual_mov_b32 v203, v101
	v_add_f16_e64 v29, v29, v199
	v_mul_f16_e64 v199, 0xba62, v123
	v_dual_mov_b32 v168, v97 :: v_dual_mov_b32 v157, v112
	v_mov_b32_e32 v212, v122
	v_mov_b32_e32 v112, v106
	s_delay_alu instid0(VALU_DEP_4)
	v_fma_f16 v31, 0xb8d2, v183, v199
	v_mov_b32_e32 v162, v110
	v_fmac_f16_e64 v205, 0x2de8, v153
	scratch_store_b32 off, v60, off offset:88 ; 4-byte Folded Spill
	v_mov_b32_e32 v170, v118
	v_add_f16_e32 v28, v31, v28
	v_fma_f16 v31, 0xbbdd, v186, v27
	v_mul_f16_e32 v27, 0x3836, v52
	v_mov_b32_e32 v118, v246
	v_mul_f16_e64 v246, 0x3836, v49
	scratch_store_b32 off, v79, off offset:76 ; 4-byte Folded Spill
	v_add_f16_e32 v28, v31, v28
	v_fma_f16 v31, 0xbacd, v187, v27
	v_mul_f16_e64 v27, 0x3bb2, v174
	v_mov_b32_e32 v204, v255
	scratch_store_b32 off, v77, off offset:80 ; 4-byte Folded Spill
	v_mov_b32_e32 v206, v126
	v_add_f16_e32 v28, v31, v28
	v_fma_f16 v31, 0xb461, v188, v27
	v_mul_f16_e64 v27, 0x3b29, v180
	v_mov_b32_e32 v126, v114
	v_mov_b32_e32 v114, v87
	;; [unrolled: 1-line block ×3, first 2 shown]
	v_add_f16_e32 v28, v31, v28
	v_fma_f16 v31, v159, 0xb8d2, -v209
	v_mov_b32_e32 v202, v102
	v_fmac_f16_e64 v209, 0xb8d2, v159
	scratch_store_b32 off, v75, off offset:84 ; 4-byte Folded Spill
	v_mov_b32_e32 v132, v131
	v_add_f16_e32 v29, v31, v29
	v_fma_f16 v31, 0x3722, v189, v27
	v_mul_f16_e64 v27, 0x35c8, v184
	v_dual_mov_b32 v131, v130 :: v_dual_mov_b32 v182, v250
	v_mov_b32_e32 v130, v129
	s_delay_alu instid0(VALU_DEP_4) | instskip(SKIP_4) | instid1(VALU_DEP_4)
	v_add_f16_e32 v28, v31, v28
	v_fma_f16 v31, v163, 0xbbdd, -v211
	v_dual_mov_b32 v129, v128 :: v_dual_mov_b32 v208, v253
	v_mov_b32_e32 v128, v248
	v_fmac_f16_e64 v211, 0xbbdd, v163
	v_add_f16_e32 v29, v31, v29
	v_fma_f16 v31, 0x3b76, v190, v27
	scratch_store_b32 off, v65, off offset:92 ; 4-byte Folded Spill
	v_mov_b32_e32 v181, v121
	scratch_store_b32 off, v46, off offset:104 ; 4-byte Folded Spill
	v_mov_b32_e32 v172, v86
	v_add_f16_e32 v27, v31, v28
	v_fma_f16 v31, v167, 0xbacd, -v213
	s_clause 0x1
	scratch_store_b32 off, v30, off offset:40
	scratch_store_b32 off, v33, off offset:132
	v_mov_b32_e32 v30, v245
	scratch_store_b32 off, v27, off offset:20 ; 4-byte Folded Spill
	v_add_f16_e32 v29, v31, v29
	v_fma_f16 v31, v171, 0xb461, -v214
	v_fmac_f16_e64 v213, 0xbacd, v167
	v_fmac_f16_e64 v214, 0xb461, v171
	s_clause 0x1
	scratch_store_b32 off, v78, off offset:108
	scratch_store_b32 off, v76, off offset:112
	v_add_f16_e32 v29, v31, v29
	v_fma_f16 v31, 0x3722, v173, v215
	v_mov_b32_e32 v121, v104
	s_delay_alu instid0(VALU_DEP_2) | instskip(NEXT) | instid1(VALU_DEP_1)
	v_add_f16_e64 v31, v151, v31
	v_add_f16_e32 v31, v32, v31
	v_fma_f16 v32, v176, 0x3722, -v217
	v_fmac_f16_e64 v217, 0x3722, v176
	s_delay_alu instid0(VALU_DEP_2) | instskip(SKIP_1) | instid1(VALU_DEP_1)
	v_add_f16_e32 v29, v32, v29
	v_fma_f16 v32, 0xbbdd, v183, v218
	v_add_f16_e32 v31, v32, v31
	v_mul_f16_e64 v32, 0x35c8, v196
	s_delay_alu instid0(VALU_DEP_1) | instskip(SKIP_1) | instid1(VALU_DEP_2)
	v_fma_f16 v33, v179, 0x3b76, -v32
	v_fmac_f16_e64 v32, 0x3b76, v179
	v_add_f16_e32 v27, v33, v29
	v_fma_f16 v33, 0xb461, v186, v219
	v_mov_b32_e32 v29, v117
	v_mov_b32_e32 v117, v244
	scratch_store_b32 off, v27, off offset:24 ; 4-byte Folded Spill
	v_add_f16_e32 v31, v33, v31
	v_fma_f16 v33, 0x39e9, v187, v220
	scratch_store_b32 off, v68, off offset:120 ; 4-byte Folded Spill
	v_add_f16_e32 v31, v33, v31
	v_fma_f16 v33, v153, 0xb8d2, -v221
	v_fmac_f16_e64 v221, 0xb8d2, v153
	s_delay_alu instid0(VALU_DEP_2) | instskip(SKIP_1) | instid1(VALU_DEP_1)
	v_add_f16_e64 v33, v33, v200
	v_mul_f16_e64 v200, 0xb5c8, v174
	v_fma_f16 v222, 0x3b76, v188, v200
	s_delay_alu instid0(VALU_DEP_1) | instskip(SKIP_1) | instid1(VALU_DEP_1)
	v_add_f16_e64 v31, v222, v31
	v_mul_f16_e64 v222, 0x31e1, v192
	v_fma_f16 v223, v159, 0xbbdd, -v222
	v_fmac_f16_e64 v222, 0xbbdd, v159
	s_delay_alu instid0(VALU_DEP_2) | instskip(SKIP_1) | instid1(VALU_DEP_1)
	v_add_f16_e64 v33, v223, v33
	v_mul_f16_e64 v223, 0xbbf7, v180
	v_fma_f16 v224, 0x2de8, v189, v223
	s_delay_alu instid0(VALU_DEP_1) | instskip(SKIP_1) | instid1(VALU_DEP_1)
	v_add_f16_e64 v31, v224, v31
	v_mul_f16_e64 v224, 0x3bb2, v193
	v_fma_f16 v225, v163, 0xb461, -v224
	v_fmac_f16_e64 v224, 0xb461, v163
	s_delay_alu instid0(VALU_DEP_2) | instskip(SKIP_1) | instid1(VALU_DEP_1)
	v_add_f16_e64 v33, v225, v33
	v_mul_f16_e64 v225, 0xb836, v184
	v_fma_f16 v226, 0xbacd, v190, v225
	s_delay_alu instid0(VALU_DEP_1)
	v_add_f16_e64 v27, v226, v31
	v_mul_f16_e64 v226, 0x3964, v194
	v_mov_b32_e32 v31, v249
	scratch_store_b32 off, v27, off offset:32 ; 4-byte Folded Spill
	v_fma_f16 v227, v167, 0x39e9, -v226
	scratch_store_b32 off, v51, off offset:124 ; 4-byte Folded Spill
	v_mov_b32_e32 v51, v64
	v_fmac_f16_e64 v226, 0x39e9, v167
	v_add_f16_e64 v33, v227, v33
	v_mul_f16_e64 v227, 0xb5c8, v195
	s_delay_alu instid0(VALU_DEP_1) | instskip(SKIP_1) | instid1(VALU_DEP_2)
	v_fma_f16 v228, v171, 0x3b76, -v227
	v_fmac_f16_e64 v227, 0x3b76, v171
	v_add_f16_e64 v33, v228, v33
	v_mul_f16_e64 v228, 0xbbf7, v165
	s_delay_alu instid0(VALU_DEP_1) | instskip(NEXT) | instid1(VALU_DEP_1)
	v_fma_f16 v229, 0x2de8, v173, v228
	v_add_f16_e64 v229, v151, v229
	s_delay_alu instid0(VALU_DEP_1) | instskip(SKIP_1) | instid1(VALU_DEP_1)
	v_add_f16_e64 v229, v231, v229
	v_mul_f16_e64 v231, 0xbbf7, v197
	v_fma_f16 v232, v176, 0x2de8, -v231
	v_fmac_f16_e64 v231, 0x2de8, v176
	s_delay_alu instid0(VALU_DEP_2) | instskip(SKIP_1) | instid1(VALU_DEP_1)
	v_add_f16_e64 v33, v232, v33
	v_mul_f16_e64 v232, 0x3bb2, v123
	v_fma_f16 v233, 0xb461, v183, v232
	s_delay_alu instid0(VALU_DEP_1) | instskip(SKIP_1) | instid1(VALU_DEP_1)
	v_add_f16_e64 v229, v233, v229
	v_mul_f16_e64 v233, 0xb836, v196
	v_fma_f16 v234, v179, 0xbacd, -v233
	v_fmac_f16_e64 v233, 0xbacd, v179
	s_delay_alu instid0(VALU_DEP_2)
	v_add_f16_e64 v27, v234, v33
	v_mul_f16_e64 v234, 0x35c8, v64
	scratch_store_b32 off, v27, off offset:36 ; 4-byte Folded Spill
	v_fma_f16 v235, 0x3b76, v186, v234
	scratch_store_b32 off, v62, off offset:128 ; 4-byte Folded Spill
	v_add_f16_e64 v229, v235, v229
	v_mul_f16_e64 v235, 0xbb29, v52
	s_delay_alu instid0(VALU_DEP_1) | instskip(NEXT) | instid1(VALU_DEP_1)
	v_fma_f16 v236, 0x3722, v187, v235
	v_add_f16_e64 v229, v236, v229
	v_mul_f16_e64 v236, 0xb1e1, v191
	s_delay_alu instid0(VALU_DEP_1) | instskip(SKIP_1) | instid1(VALU_DEP_2)
	v_fma_f16 v237, v153, 0xbbdd, -v236
	v_fmac_f16_e64 v236, 0xbbdd, v153
	v_add_f16_e64 v42, v237, v42
	v_mul_f16_e64 v237, 0xb836, v174
	s_delay_alu instid0(VALU_DEP_3) | instskip(NEXT) | instid1(VALU_DEP_2)
	v_add_f16_e64 v34, v236, v34
	v_fma_f16 v238, 0xbacd, v188, v237
	s_delay_alu instid0(VALU_DEP_1) | instskip(SKIP_1) | instid1(VALU_DEP_1)
	v_add_f16_e64 v229, v238, v229
	v_mul_f16_e64 v238, 0x3bb2, v192
	v_fma_f16 v239, v159, 0xb461, -v238
	v_fmac_f16_e64 v238, 0xb461, v159
	s_delay_alu instid0(VALU_DEP_2) | instskip(SKIP_1) | instid1(VALU_DEP_3)
	v_add_f16_e64 v42, v239, v42
	v_mul_f16_e64 v239, 0x3a62, v180
	v_add_f16_e64 v34, v238, v34
	v_or_b32_e32 v238, 0x600, v48
	s_delay_alu instid0(VALU_DEP_3) | instskip(NEXT) | instid1(VALU_DEP_1)
	v_fma_f16 v240, 0xb8d2, v189, v239
	v_add_f16_e64 v229, v240, v229
	v_mul_f16_e64 v240, 0x35c8, v193
	s_delay_alu instid0(VALU_DEP_1) | instskip(SKIP_1) | instid1(VALU_DEP_2)
	v_fma_f16 v241, v163, 0x3b76, -v240
	v_fmac_f16_e64 v240, 0x3b76, v163
	v_add_f16_e64 v42, v241, v42
	v_mul_f16_e64 v241, 0x3964, v184
	s_delay_alu instid0(VALU_DEP_3) | instskip(SKIP_1) | instid1(VALU_DEP_3)
	v_add_f16_e64 v34, v240, v34
	v_or_b32_e32 v240, 0x300, v48
	v_fma_f16 v242, 0x39e9, v190, v241
	s_delay_alu instid0(VALU_DEP_1)
	v_add_f16_e64 v27, v242, v229
	v_mul_f16_e64 v242, 0xbb29, v194
	v_mov_b32_e32 v229, v127
	v_mov_b32_e32 v127, v247
	v_fma_f16 v247, 0xbacd, v178, v246
	scratch_store_b32 off, v27, off offset:44 ; 4-byte Folded Spill
	v_fma_f16 v243, v167, 0x3722, -v242
	v_fmac_f16_e64 v242, 0x3722, v167
	s_delay_alu instid0(VALU_DEP_2) | instskip(SKIP_1) | instid1(VALU_DEP_3)
	v_add_f16_e64 v42, v243, v42
	v_mul_f16_e64 v243, 0xb836, v195
	v_add_f16_e64 v34, v242, v34
	v_mov_b32_e32 v242, v113
	v_lshrrev_b32_e32 v113, 16, v2
	s_delay_alu instid0(VALU_DEP_4) | instskip(SKIP_1) | instid1(VALU_DEP_2)
	v_fma_f16 v244, v171, 0xbacd, -v243
	v_fmac_f16_e64 v243, 0xbacd, v171
	v_add_f16_e64 v42, v244, v42
	v_mul_f16_e64 v244, 0xbbb2, v165
	s_delay_alu instid0(VALU_DEP_3) | instskip(SKIP_2) | instid1(VALU_DEP_1)
	v_add_f16_e64 v34, v243, v34
	scratch_load_b32 v243, off, off offset:12 ; 4-byte Folded Reload
	v_fma_f16 v245, 0xb461, v173, v244
	v_add_f16_e64 v245, v151, v245
	s_delay_alu instid0(VALU_DEP_1) | instskip(SKIP_1) | instid1(VALU_DEP_1)
	v_add_f16_e64 v245, v247, v245
	v_mul_f16_e64 v247, 0x3a62, v197
	v_fma_f16 v248, v176, 0xb8d2, -v247
	v_fmac_f16_e64 v247, 0xb8d2, v176
	s_delay_alu instid0(VALU_DEP_2) | instskip(SKIP_1) | instid1(VALU_DEP_3)
	v_add_f16_e64 v42, v248, v42
	v_mul_f16_e64 v248, 0x3964, v123
	v_add_f16_e64 v34, v247, v34
	v_mov_b32_e32 v247, v127
	v_mov_b32_e32 v127, v229
	s_delay_alu instid0(VALU_DEP_4) | instskip(NEXT) | instid1(VALU_DEP_1)
	v_fma_f16 v249, 0x39e9, v183, v248
	v_add_f16_e64 v245, v249, v245
	v_mul_f16_e64 v249, 0x3964, v196
	s_delay_alu instid0(VALU_DEP_1) | instskip(SKIP_1) | instid1(VALU_DEP_2)
	v_fma_f16 v250, v179, 0x39e9, -v249
	v_fmac_f16_e64 v249, 0x39e9, v179
	v_add_f16_e64 v27, v250, v42
	v_mul_f16_e64 v250, 0xbb29, v64
	v_mov_b32_e32 v42, v94
	s_delay_alu instid0(VALU_DEP_4) | instskip(SKIP_4) | instid1(VALU_DEP_2)
	v_add_f16_e64 v34, v249, v34
	v_mov_b32_e32 v249, v31
	scratch_store_b32 off, v27, off offset:56 ; 4-byte Folded Spill
	v_fma_f16 v251, 0x3722, v186, v250
	v_mov_b32_e32 v27, v252
	v_add_f16_e64 v245, v251, v245
	v_mul_f16_e64 v251, 0xb1e1, v52
	s_delay_alu instid0(VALU_DEP_1) | instskip(NEXT) | instid1(VALU_DEP_1)
	v_fma_f16 v252, 0xbbdd, v187, v251
	v_add_f16_e64 v245, v252, v245
	v_mul_f16_e64 v252, 0x3836, v191
	s_delay_alu instid0(VALU_DEP_1) | instskip(SKIP_1) | instid1(VALU_DEP_2)
	v_fma_f16 v253, v153, 0xbacd, -v252
	v_fmac_f16_e64 v252, 0xbacd, v153
	v_add_f16_e64 v41, v253, v41
	v_mul_f16_e64 v253, 0x3bf7, v174
	s_delay_alu instid0(VALU_DEP_3) | instskip(NEXT) | instid1(VALU_DEP_2)
	v_add_f16_e64 v36, v252, v36
	v_fma_f16 v254, 0x2de8, v188, v253
	s_delay_alu instid0(VALU_DEP_1) | instskip(SKIP_1) | instid1(VALU_DEP_1)
	v_add_f16_e64 v245, v254, v245
	v_mul_f16_e64 v254, 0x3964, v192
	v_fma_f16 v255, v159, 0x39e9, -v254
	v_fmac_f16_e64 v254, 0x39e9, v159
	s_delay_alu instid0(VALU_DEP_2) | instskip(SKIP_1) | instid1(VALU_DEP_3)
	v_add_f16_e64 v41, v255, v41
	v_mul_f16_e64 v255, 0xb5c8, v180
	v_add_f16_e64 v36, v254, v36
	s_delay_alu instid0(VALU_DEP_2) | instskip(NEXT) | instid1(VALU_DEP_1)
	v_fma_f16 v43, 0x3b76, v189, v255
	v_add_f16_e64 v43, v43, v245
	v_mul_f16_e64 v245, 0xbb29, v193
	s_delay_alu instid0(VALU_DEP_1) | instskip(SKIP_1) | instid1(VALU_DEP_2)
	v_fma_f16 v45, v163, 0x3722, -v245
	v_fmac_f16_e64 v245, 0x3722, v163
	v_add_f16_e32 v41, v45, v41
	v_mul_f16_e64 v45, 0xba62, v184
	s_delay_alu instid0(VALU_DEP_3) | instskip(SKIP_1) | instid1(VALU_DEP_3)
	v_add_f16_e64 v36, v245, v36
	v_mov_b32_e32 v245, v30
	v_fma_f16 v46, 0xb8d2, v190, v45
	v_fma_f16 v45, v190, 0xb8d2, -v45
	s_delay_alu instid0(VALU_DEP_2)
	v_add_f16_e32 v28, v46, v43
	v_mul_f16_e64 v46, 0xb1e1, v194
	v_mov_b32_e32 v43, v59
	v_mul_f16_e64 v59, 0x3bb2, v169
	scratch_store_b32 off, v28, off offset:60 ; 4-byte Folded Spill
	v_fma_f16 v49, v167, 0xbbdd, -v46
	v_mov_b32_e32 v28, v99
	v_fma_f16 v60, 0xb461, v178, v59
	v_mov_b32_e32 v252, v27
	scratch_load_b32 v27, off, off offset:48 th:TH_LOAD_LU ; 4-byte Folded Reload
	v_add_f16_e32 v41, v49, v41
	v_mul_f16_e64 v49, 0x3bf7, v195
	v_fma_f16 v59, v178, 0xb461, -v59
	v_fmac_f16_e64 v46, 0xbbdd, v167
	s_delay_alu instid0(VALU_DEP_3) | instskip(SKIP_1) | instid1(VALU_DEP_3)
	v_fma_f16 v47, v171, 0x2de8, -v49
	v_fmac_f16_e64 v49, 0x2de8, v171
	v_add_f16_e32 v36, v46, v36
	v_fma_f16 v46, v189, 0x3b76, -v255
	v_mov_b32_e32 v255, v204
	v_add_f16_e32 v41, v47, v41
	v_mul_f16_e64 v47, 0xba62, v165
	v_add_f16_e32 v36, v49, v36
	v_fma_f16 v49, v173, 0x2de8, -v228
	s_delay_alu instid0(VALU_DEP_3) | instskip(SKIP_1) | instid1(VALU_DEP_3)
	v_fma_f16 v99, 0xb8d2, v173, v47
	v_fma_f16 v47, v173, 0xb8d2, -v47
	v_add_f16_e64 v49, v151, v49
	s_delay_alu instid0(VALU_DEP_3) | instskip(NEXT) | instid1(VALU_DEP_3)
	v_add_f16_e64 v99, v151, v99
	v_add_f16_e64 v47, v151, v47
	s_delay_alu instid0(VALU_DEP_2) | instskip(SKIP_1) | instid1(VALU_DEP_3)
	v_add_f16_e32 v60, v60, v99
	v_mul_f16_e64 v99, 0xb5c8, v197
	v_add_f16_e32 v47, v59, v47
	s_delay_alu instid0(VALU_DEP_2) | instskip(SKIP_1) | instid1(VALU_DEP_2)
	v_fma_f16 v61, v176, 0x3b76, -v99
	v_fmac_f16_e64 v99, 0x3b76, v176
	v_add_f16_e32 v41, v61, v41
	v_mul_f16_e32 v61, 0xb5c8, v123
	s_delay_alu instid0(VALU_DEP_3) | instskip(SKIP_1) | instid1(VALU_DEP_3)
	v_add_f16_e32 v36, v99, v36
	v_mov_b32_e32 v99, v28
	v_fma_f16 v62, 0x3b76, v183, v61
	v_fma_f16 v61, v183, 0x3b76, -v61
	s_delay_alu instid0(VALU_DEP_2) | instskip(SKIP_1) | instid1(VALU_DEP_3)
	v_add_f16_e32 v60, v62, v60
	v_mul_f16_e64 v62, 0xba62, v196
	v_add_f16_e32 v47, v61, v47
	s_delay_alu instid0(VALU_DEP_2) | instskip(SKIP_1) | instid1(VALU_DEP_2)
	v_fma_f16 v63, v179, 0xb8d2, -v62
	v_fmac_f16_e64 v62, 0xb8d2, v179
	v_add_f16_e32 v33, v63, v41
	v_mul_f16_e32 v63, 0xb836, v64
	v_mov_b32_e32 v41, v95
	s_delay_alu instid0(VALU_DEP_4) | instskip(SKIP_4) | instid1(VALU_DEP_2)
	v_add_f16_e32 v36, v62, v36
	v_fma_f16 v62, v173, 0x39e9, -v198
	scratch_store_b32 off, v33, off offset:64 ; 4-byte Folded Spill
	v_fma_f16 v64, 0xbacd, v186, v63
	v_add_f16_e64 v62, v151, v62
	v_add_f16_e32 v60, v64, v60
	v_mul_f16_e32 v64, 0x3bf7, v52
	s_delay_alu instid0(VALU_DEP_1) | instskip(NEXT) | instid1(VALU_DEP_1)
	v_fma_f16 v65, 0x2de8, v187, v64
	v_add_f16_e32 v60, v65, v60
	v_mul_f16_e64 v65, 0x3bb2, v191
	s_delay_alu instid0(VALU_DEP_1) | instskip(SKIP_1) | instid1(VALU_DEP_2)
	v_fma_f16 v68, v153, 0xb461, -v65
	v_fmac_f16_e64 v65, 0xb461, v153
	v_add_f16_e32 v40, v68, v40
	v_mul_f16_e64 v68, 0xb964, v174
	s_delay_alu instid0(VALU_DEP_3) | instskip(SKIP_1) | instid1(VALU_DEP_3)
	v_add_f16_e32 v37, v65, v37
	v_add_f16_e64 v65, v152, v151
	v_fma_f16 v75, 0x39e9, v188, v68
	s_delay_alu instid0(VALU_DEP_2) | instskip(NEXT) | instid1(VALU_DEP_2)
	v_add_f16_e64 v65, v148, v65
	v_add_f16_e32 v60, v75, v60
	v_mul_f16_e64 v75, 0xb5c8, v192
	s_delay_alu instid0(VALU_DEP_3) | instskip(NEXT) | instid1(VALU_DEP_2)
	v_add_f16_e64 v65, v147, v65
	v_fma_f16 v76, v159, 0x3b76, -v75
	v_fmac_f16_e64 v75, 0x3b76, v159
	s_delay_alu instid0(VALU_DEP_2) | instskip(SKIP_1) | instid1(VALU_DEP_3)
	v_add_f16_e32 v40, v76, v40
	v_mul_f16_e64 v76, 0xb1e1, v180
	v_add_f16_e32 v37, v75, v37
	v_mul_f16_e64 v75, 0xb964, v169
	s_delay_alu instid0(VALU_DEP_3) | instskip(NEXT) | instid1(VALU_DEP_2)
	v_fma_f16 v77, 0xbbdd, v189, v76
	v_sub_f16_e32 v75, v43, v75
	s_delay_alu instid0(VALU_DEP_2) | instskip(SKIP_1) | instid1(VALU_DEP_1)
	v_add_f16_e32 v60, v77, v60
	v_mul_f16_e64 v77, 0xb836, v193
	v_fma_f16 v78, v163, 0xbacd, -v77
	v_fmac_f16_e64 v77, 0xbacd, v163
	s_delay_alu instid0(VALU_DEP_2) | instskip(SKIP_1) | instid1(VALU_DEP_3)
	v_add_f16_e32 v40, v78, v40
	v_mul_f16_e64 v78, 0x3b29, v184
	v_add_f16_e32 v37, v77, v37
	s_delay_alu instid0(VALU_DEP_2) | instskip(NEXT) | instid1(VALU_DEP_1)
	v_fma_f16 v79, 0x3722, v190, v78
	v_add_f16_e32 v33, v79, v60
	v_mul_f16_e64 v79, 0x3bf7, v194
	v_mov_b32_e32 v60, v80
	v_mov_b32_e32 v254, v207
	scratch_store_b32 off, v33, off offset:68 ; 4-byte Folded Spill
	v_fma_f16 v80, v167, 0x2de8, -v79
	v_fmac_f16_e64 v79, 0x2de8, v167
	s_delay_alu instid0(VALU_DEP_2) | instskip(SKIP_1) | instid1(VALU_DEP_3)
	v_add_f16_e32 v40, v80, v40
	v_mul_f16_e64 v80, 0xb964, v195
	v_add_f16_e32 v37, v79, v37
	s_delay_alu instid0(VALU_DEP_2) | instskip(SKIP_1) | instid1(VALU_DEP_2)
	v_fma_f16 v81, v171, 0x39e9, -v80
	v_fmac_f16_e64 v80, 0x39e9, v171
	v_add_f16_e32 v40, v81, v40
	v_mul_f16_e64 v81, 0xb836, v165
	s_delay_alu instid0(VALU_DEP_3) | instskip(NEXT) | instid1(VALU_DEP_2)
	v_add_f16_e32 v37, v80, v37
	v_fma_f16 v82, 0xbacd, v173, v81
	v_fma_f16 v81, v173, 0xbacd, -v81
	s_delay_alu instid0(VALU_DEP_2) | instskip(NEXT) | instid1(VALU_DEP_2)
	v_add_f16_e64 v82, v151, v82
	v_add_f16_e64 v81, v151, v81
	s_delay_alu instid0(VALU_DEP_2) | instskip(SKIP_1) | instid1(VALU_DEP_1)
	v_add_f16_e32 v82, v105, v82
	v_mul_f16_e64 v105, 0xb1e1, v197
	v_fma_f16 v83, v176, 0xbbdd, -v105
	v_fmac_f16_e64 v105, 0xbbdd, v176
	s_delay_alu instid0(VALU_DEP_2) | instskip(SKIP_1) | instid1(VALU_DEP_3)
	v_add_f16_e32 v40, v83, v40
	v_mul_f16_e32 v83, 0xbbf7, v123
	v_add_f16_e32 v37, v105, v37
	v_mov_b32_e32 v105, v111
	v_mov_b32_e32 v111, v156
	s_delay_alu instid0(VALU_DEP_4) | instskip(SKIP_1) | instid1(VALU_DEP_2)
	v_fma_f16 v84, 0x2de8, v183, v83
	v_fma_f16 v83, v183, 0x2de8, -v83
	v_add_f16_e32 v82, v84, v82
	v_mul_f16_e64 v84, 0x3b29, v196
	s_delay_alu instid0(VALU_DEP_1) | instskip(SKIP_1) | instid1(VALU_DEP_2)
	v_fma_f16 v85, v179, 0x3722, -v84
	v_fmac_f16_e64 v84, 0x3722, v179
	v_add_f16_e32 v33, v85, v40
	v_mul_f16_e32 v85, 0x3a62, v51
	v_dual_mov_b32 v40, v125 :: v_dual_mov_b32 v125, v96
	v_mul_f16_e64 v96, 0x35c8, v169
	scratch_store_b32 off, v33, off offset:72 ; 4-byte Folded Spill
	v_fma_f16 v86, 0xb8d2, v186, v85
	v_mov_b32_e32 v33, v14
	v_add_f16_e32 v37, v84, v37
	v_fma_f16 v97, 0x3b76, v178, v96
	v_fma_f16 v96, v178, 0x3b76, -v96
	v_add_f16_e32 v82, v86, v82
	v_mul_f16_e32 v86, 0xb5c8, v52
	s_delay_alu instid0(VALU_DEP_1) | instskip(NEXT) | instid1(VALU_DEP_1)
	v_fma_f16 v87, 0x3b76, v187, v86
	v_add_f16_e32 v82, v87, v82
	v_mul_f16_e64 v87, 0x3b29, v191
	s_delay_alu instid0(VALU_DEP_1) | instskip(SKIP_1) | instid1(VALU_DEP_2)
	v_fma_f16 v88, v153, 0x3722, -v87
	v_fmac_f16_e64 v87, 0x3722, v153
	v_add_f16_e32 v39, v88, v39
	v_mul_f16_e64 v88, 0xb1e1, v174
	s_delay_alu instid0(VALU_DEP_3) | instskip(SKIP_2) | instid1(VALU_DEP_4)
	v_add_f16_e32 v35, v87, v35
	v_dual_mov_b32 v87, v114 :: v_dual_mov_b32 v136, v100
	v_mov_b32_e32 v114, v126
	v_fma_f16 v89, 0xbbdd, v188, v88
	v_fma_f16 v59, v188, 0xbbdd, -v88
	v_mov_b32_e32 v126, v206
	v_mov_b32_e32 v88, v160
	s_delay_alu instid0(VALU_DEP_4) | instskip(SKIP_1) | instid1(VALU_DEP_1)
	v_add_f16_e32 v82, v89, v82
	v_mul_f16_e64 v89, 0xbbf7, v192
	v_fma_f16 v90, v159, 0x2de8, -v89
	v_fmac_f16_e64 v89, 0x2de8, v159
	s_delay_alu instid0(VALU_DEP_2) | instskip(SKIP_1) | instid1(VALU_DEP_3)
	v_add_f16_e32 v39, v90, v39
	v_mul_f16_e64 v90, 0x3964, v180
	v_add_f16_e32 v35, v89, v35
	v_mov_b32_e32 v89, v115
	v_dual_mov_b32 v115, v124 :: v_dual_mov_b32 v124, v210
	s_delay_alu instid0(VALU_DEP_4) | instskip(SKIP_3) | instid1(VALU_DEP_4)
	v_fma_f16 v14, 0x39e9, v189, v90
	v_fma_f16 v61, v189, 0x39e9, -v90
	v_mov_b32_e32 v90, v116
	v_mov_b32_e32 v116, v154
	v_add_f16_e32 v14, v14, v82
	v_mul_f16_e64 v82, 0x3a62, v193
	s_delay_alu instid0(VALU_DEP_1) | instskip(SKIP_1) | instid1(VALU_DEP_2)
	v_fma_f16 v91, v163, 0xb8d2, -v82
	v_fmac_f16_e64 v82, 0xb8d2, v163
	v_add_f16_e32 v39, v91, v39
	v_mul_f16_e64 v91, 0xbbb2, v184
	s_delay_alu instid0(VALU_DEP_3) | instskip(NEXT) | instid1(VALU_DEP_2)
	v_add_f16_e32 v35, v82, v35
	v_fma_f16 v92, 0xb461, v190, v91
	s_delay_alu instid0(VALU_DEP_1)
	v_add_f16_e32 v14, v92, v14
	v_mul_f16_e64 v92, 0xb5c8, v194
	scratch_store_b32 off, v14, off offset:116 ; 4-byte Folded Spill
	v_fma_f16 v93, v167, 0x3b76, -v92
	v_mov_b32_e32 v14, v98
	v_fmac_f16_e64 v92, 0x3b76, v167
	s_delay_alu instid0(VALU_DEP_3) | instskip(SKIP_1) | instid1(VALU_DEP_3)
	v_add_f16_e32 v39, v93, v39
	v_mul_f16_e64 v93, 0xb1e1, v195
	v_add_f16_e32 v35, v92, v35
	v_mov_b32_e32 v92, v120
	v_mov_b32_e32 v120, v158
	s_delay_alu instid0(VALU_DEP_4) | instskip(SKIP_1) | instid1(VALU_DEP_2)
	v_fma_f16 v94, v171, 0xbbdd, -v93
	v_fmac_f16_e64 v93, 0xbbdd, v171
	v_add_f16_e32 v39, v94, v39
	v_mul_f16_e64 v94, 0xb1e1, v165
	s_delay_alu instid0(VALU_DEP_3) | instskip(SKIP_1) | instid1(VALU_DEP_3)
	v_add_f16_e32 v35, v93, v35
	v_mov_b32_e32 v93, v166
	v_fma_f16 v95, 0xbbdd, v173, v94
	v_fma_f16 v94, v173, 0xbbdd, -v94
	s_delay_alu instid0(VALU_DEP_2) | instskip(NEXT) | instid1(VALU_DEP_2)
	v_add_f16_e64 v95, v151, v95
	v_add_f16_e64 v94, v151, v94
	s_delay_alu instid0(VALU_DEP_2) | instskip(SKIP_1) | instid1(VALU_DEP_3)
	v_add_f16_e32 v95, v97, v95
	v_mul_f16_e64 v97, 0x3964, v197
	v_add_f16_e32 v94, v96, v94
	s_delay_alu instid0(VALU_DEP_2) | instskip(SKIP_1) | instid1(VALU_DEP_2)
	v_fma_f16 v98, v176, 0x39e9, -v97
	v_fmac_f16_e64 v97, 0x39e9, v176
	v_add_f16_e32 v39, v98, v39
	v_mul_f16_e32 v98, 0xb836, v123
	s_delay_alu instid0(VALU_DEP_3) | instskip(SKIP_1) | instid1(VALU_DEP_3)
	v_add_f16_e32 v35, v97, v35
	v_mov_b32_e32 v97, v168
	v_fma_f16 v96, v183, 0xbacd, -v98
	v_fma_f16 v100, 0xbacd, v183, v98
	v_mul_f16_e64 v98, 0x3b29, v195
	s_delay_alu instid0(VALU_DEP_3) | instskip(SKIP_3) | instid1(VALU_DEP_1)
	v_add_f16_e32 v94, v96, v94
	scratch_load_b32 v96, off, off offset:132 th:TH_LOAD_LU ; 4-byte Folded Reload
	v_add_f16_e32 v95, v100, v95
	v_mul_f16_e64 v100, 0xbbb2, v196
	v_fma_f16 v101, v179, 0xb461, -v100
	v_fmac_f16_e64 v100, 0xb461, v179
	s_delay_alu instid0(VALU_DEP_2) | instskip(SKIP_1) | instid1(VALU_DEP_3)
	v_add_f16_e32 v39, v101, v39
	v_mul_f16_e32 v101, 0x3964, v51
	v_add_f16_e32 v35, v100, v35
	s_delay_alu instid0(VALU_DEP_2) | instskip(SKIP_1) | instid1(VALU_DEP_2)
	v_fma_f16 v102, 0x39e9, v186, v101
	v_fma_f16 v101, v186, 0x39e9, -v101
	v_add_f16_e32 v95, v102, v95
	v_mul_f16_e32 v102, 0xba62, v52
	s_delay_alu instid0(VALU_DEP_3) | instskip(SKIP_1) | instid1(VALU_DEP_3)
	v_add_f16_e32 v94, v101, v94
	v_mul_f16_e64 v101, 0xbbb2, v197
	v_fma_f16 v104, 0xb8d2, v187, v102
	v_fma_f16 v102, v187, 0xb8d2, -v102
	s_delay_alu instid0(VALU_DEP_2) | instskip(SKIP_1) | instid1(VALU_DEP_3)
	v_add_f16_e32 v95, v104, v95
	v_mul_f16_e64 v104, 0x35c8, v191
	v_add_f16_e32 v94, v102, v94
	s_delay_alu instid0(VALU_DEP_2) | instskip(SKIP_1) | instid1(VALU_DEP_2)
	v_fma_f16 v191, v153, 0x3b76, -v104
	v_fmac_f16_e64 v104, 0x3b76, v153
	v_add_f16_e64 v38, v191, v38
	v_mul_f16_e64 v191, 0x3b29, v174
	s_delay_alu instid0(VALU_DEP_1) | instskip(SKIP_1) | instid1(VALU_DEP_2)
	v_fma_f16 v106, 0x3722, v188, v191
	v_fma_f16 v102, v188, 0x3722, -v191
	v_add_f16_e32 v95, v106, v95
	v_mul_f16_e64 v106, 0xb836, v192
	s_delay_alu instid0(VALU_DEP_3) | instskip(NEXT) | instid1(VALU_DEP_2)
	v_add_f16_e32 v94, v102, v94
	v_fma_f16 v192, v159, 0xbacd, -v106
	v_fmac_f16_e64 v106, 0xbacd, v159
	s_delay_alu instid0(VALU_DEP_2) | instskip(SKIP_1) | instid1(VALU_DEP_1)
	v_add_f16_e64 v38, v192, v38
	v_mul_f16_e64 v192, 0xbbb2, v180
	v_fma_f16 v107, 0xb461, v189, v192
	v_fma_f16 v102, v189, 0xb461, -v192
	s_delay_alu instid0(VALU_DEP_2) | instskip(SKIP_1) | instid1(VALU_DEP_3)
	v_add_f16_e32 v95, v107, v95
	v_mul_f16_e64 v107, 0x3964, v193
	v_add_f16_e32 v94, v102, v94
	s_delay_alu instid0(VALU_DEP_2) | instskip(SKIP_1) | instid1(VALU_DEP_2)
	v_fma_f16 v193, v163, 0x39e9, -v107
	v_fmac_f16_e64 v107, 0x39e9, v163
	v_add_f16_e64 v38, v193, v38
	v_mul_f16_e64 v193, 0x3bf7, v184
	s_delay_alu instid0(VALU_DEP_1) | instskip(NEXT) | instid1(VALU_DEP_1)
	v_fma_f16 v110, 0x2de8, v190, v193
	v_add_f16_e32 v95, v110, v95
	v_mul_f16_e64 v110, 0xba62, v194
	s_delay_alu instid0(VALU_DEP_1) | instskip(SKIP_1) | instid1(VALU_DEP_2)
	v_fma_f16 v194, v167, 0xb8d2, -v110
	v_fmac_f16_e64 v110, 0xb8d2, v167
	v_add_f16_e64 v38, v194, v38
	s_wait_loadcnt 0x0
	v_add_f16_e32 v96, v104, v96
	v_fma_f16 v104, v171, 0x3722, -v98
	v_fmac_f16_e64 v98, 0x3722, v171
	s_delay_alu instid0(VALU_DEP_3) | instskip(NEXT) | instid1(VALU_DEP_3)
	v_add_f16_e32 v96, v106, v96
	v_add_f16_e32 v38, v104, v38
	v_fma_f16 v104, v176, 0xb461, -v101
	v_fmac_f16_e64 v101, 0xb461, v176
	s_delay_alu instid0(VALU_DEP_4) | instskip(SKIP_1) | instid1(VALU_DEP_4)
	v_add_f16_e32 v96, v107, v96
	v_mov_b32_e32 v107, v122
	v_add_f16_e32 v38, v104, v38
	v_dual_mov_b32 v104, v121 :: v_dual_mov_b32 v121, v181
	s_delay_alu instid0(VALU_DEP_4) | instskip(SKIP_2) | instid1(VALU_DEP_3)
	v_add_f16_e32 v96, v110, v96
	v_mov_b32_e32 v110, v162
	v_mov_b32_e32 v100, v136
	v_add_f16_e32 v96, v98, v96
	v_fma_f16 v98, v178, 0x3722, -v103
	v_mov_b32_e32 v103, v135
	s_delay_alu instid0(VALU_DEP_3) | instskip(NEXT) | instid1(VALU_DEP_3)
	v_add_f16_e32 v96, v101, v96
	v_add_f16_e32 v81, v98, v81
	v_mul_f16_e64 v98, 0x3bf7, v196
	v_dual_mov_b32 v101, v203 :: v_dual_mov_b32 v106, v112
	v_mov_b32_e32 v112, v157
	s_delay_alu instid0(VALU_DEP_4) | instskip(SKIP_4) | instid1(VALU_DEP_4)
	v_add_f16_e32 v81, v83, v81
	v_fma_f16 v83, v186, 0xb8d2, -v85
	v_fma_f16 v102, v179, 0x2de8, -v98
	v_fmac_f16_e64 v98, 0x2de8, v179
	v_dual_mov_b32 v85, v175 :: v_dual_mov_b32 v122, v212
	v_add_f16_e32 v81, v83, v81
	v_fma_f16 v83, v187, 0x3b76, -v86
	v_add_f16_e32 v38, v102, v38
	v_fma_f16 v102, v190, 0x2de8, -v193
	v_mov_b32_e32 v86, v172
	s_delay_alu instid0(VALU_DEP_4) | instskip(NEXT) | instid1(VALU_DEP_3)
	v_add_f16_e32 v81, v83, v81
	v_add_f16_e32 v94, v102, v94
	v_mov_b32_e32 v102, v202
	s_delay_alu instid0(VALU_DEP_3) | instskip(NEXT) | instid1(VALU_DEP_1)
	v_add_f16_e32 v59, v59, v81
	v_add_f16_e32 v59, v61, v59
	v_fma_f16 v61, v186, 0xbacd, -v63
	v_fma_f16 v63, v178, 0xbacd, -v246
	v_mov_b32_e32 v246, v118
	v_mov_b32_e32 v118, v170
	s_delay_alu instid0(VALU_DEP_4) | instskip(SKIP_3) | instid1(VALU_DEP_3)
	v_add_f16_e32 v47, v61, v47
	v_fma_f16 v61, v190, 0xb461, -v91
	v_mov_b32_e32 v91, v119
	v_mov_b32_e32 v119, v155
	v_add_f16_e32 v59, v61, v59
	v_fma_f16 v61, v187, 0x2de8, -v64
	v_fma_f16 v64, v190, 0xbacd, -v225
	s_delay_alu instid0(VALU_DEP_3) | instskip(NEXT) | instid1(VALU_DEP_3)
	v_pack_b32_f16 v35, v35, v59
	v_add_f16_e32 v47, v61, v47
	v_fma_f16 v61, v188, 0x39e9, -v68
	v_mul_f16_e64 v68, 0xb5c8, v165
	s_delay_alu instid0(VALU_DEP_2) | instskip(SKIP_2) | instid1(VALU_DEP_2)
	v_add_f16_e32 v47, v61, v47
	v_fma_f16 v61, v189, 0xbbdd, -v76
	v_mul_f16_e64 v76, 0x39e9, v153
	v_add_f16_e32 v47, v61, v47
	v_fma_f16 v61, v190, 0x3722, -v78
	s_delay_alu instid0(VALU_DEP_1) | instskip(SKIP_2) | instid1(VALU_DEP_3)
	v_add_f16_e32 v47, v61, v47
	v_fma_f16 v61, v173, 0xb461, -v244
	v_dual_mov_b32 v244, v117 :: v_dual_mov_b32 v117, v29
	v_pack_b32_f16 v37, v37, v47
	s_delay_alu instid0(VALU_DEP_3) | instskip(NEXT) | instid1(VALU_DEP_1)
	v_add_f16_e64 v61, v151, v61
	v_add_f16_e32 v61, v63, v61
	v_fma_f16 v63, v183, 0x39e9, -v248
	s_delay_alu instid0(VALU_DEP_1) | instskip(SKIP_2) | instid1(VALU_DEP_2)
	v_add_f16_e32 v61, v63, v61
	v_fma_f16 v63, v186, 0x3722, -v250
	v_mov_b32_e32 v250, v182
	v_add_f16_e32 v61, v63, v61
	v_fma_f16 v63, v187, 0xbbdd, -v251
	v_mov_b32_e32 v251, v185
	s_delay_alu instid0(VALU_DEP_2) | instskip(SKIP_2) | instid1(VALU_DEP_2)
	v_add_f16_e32 v61, v63, v61
	v_fma_f16 v63, v188, 0x2de8, -v253
	v_mov_b32_e32 v253, v208
	v_add_f16_e32 v61, v63, v61
	v_fma_f16 v63, v189, 0x2de8, -v223
	s_delay_alu instid0(VALU_DEP_2) | instskip(SKIP_1) | instid1(VALU_DEP_2)
	v_add_f16_e32 v46, v46, v61
	v_fma_f16 v61, v178, 0xbbdd, -v230
	v_add_f16_e32 v45, v45, v46
	s_delay_alu instid0(VALU_DEP_2) | instskip(SKIP_2) | instid1(VALU_DEP_4)
	v_add_f16_e32 v49, v61, v49
	v_fma_f16 v46, v183, 0xb461, -v232
	v_fma_f16 v61, v178, 0xb8d2, -v216
	v_pack_b32_f16 v36, v36, v45
	v_add_f16_e32 v45, v98, v96
	s_delay_alu instid0(VALU_DEP_4) | instskip(SKIP_3) | instid1(VALU_DEP_3)
	v_add_f16_e32 v46, v46, v49
	v_fma_f16 v49, v186, 0x3b76, -v234
	v_mov_b32_e32 v98, v14
	v_dual_mov_b32 v96, v125 :: v_dual_mov_b32 v125, v40
	v_add_f16_e32 v46, v49, v46
	v_fma_f16 v49, v187, 0x3722, -v235
	s_delay_alu instid0(VALU_DEP_1) | instskip(SKIP_1) | instid1(VALU_DEP_1)
	v_add_f16_e32 v46, v49, v46
	v_fma_f16 v49, v173, 0x3722, -v215
	v_add_f16_e64 v49, v151, v49
	s_delay_alu instid0(VALU_DEP_1) | instskip(SKIP_1) | instid1(VALU_DEP_1)
	v_add_f16_e32 v49, v61, v49
	v_fma_f16 v61, v188, 0xbacd, -v237
	v_add_f16_e32 v46, v61, v46
	v_fma_f16 v61, v183, 0xbbdd, -v218
	s_delay_alu instid0(VALU_DEP_1) | instskip(SKIP_2) | instid1(VALU_DEP_2)
	v_add_f16_e32 v49, v61, v49
	v_fma_f16 v61, v189, 0xb8d2, -v239
	v_or_b32_e32 v239, 0x480, v48
	v_add_f16_e32 v46, v61, v46
	v_fma_f16 v61, v186, 0xb461, -v219
	s_delay_alu instid0(VALU_DEP_1) | instskip(SKIP_2) | instid1(VALU_DEP_2)
	v_add_f16_e32 v49, v61, v49
	v_fma_f16 v61, v190, 0x39e9, -v241
	v_or_b32_e32 v241, 0x180, v48
	v_add_f16_e32 v46, v61, v46
	v_fma_f16 v61, v187, 0x39e9, -v220
	s_delay_alu instid0(VALU_DEP_2) | instskip(NEXT) | instid1(VALU_DEP_2)
	v_pack_b32_f16 v34, v34, v46
	v_add_f16_e32 v49, v61, v49
	v_fma_f16 v61, v188, 0x3b76, -v200
	s_delay_alu instid0(VALU_DEP_1)
	v_add_f16_e32 v49, v61, v49
	v_add_f16_e64 v61, v221, v27
	scratch_load_b32 v27, off, off offset:52 th:TH_LOAD_LU ; 4-byte Folded Reload
	v_add_f16_e32 v49, v63, v49
	v_fma_f16 v63, v178, 0x2de8, -v201
	v_add_f16_e64 v61, v222, v61
	s_delay_alu instid0(VALU_DEP_3) | instskip(NEXT) | instid1(VALU_DEP_3)
	v_add_f16_e32 v49, v64, v49
	v_add_f16_e32 v62, v63, v62
	v_fma_f16 v63, v183, 0xb8d2, -v199
	s_delay_alu instid0(VALU_DEP_4) | instskip(NEXT) | instid1(VALU_DEP_2)
	v_add_f16_e64 v61, v224, v61
	v_add_f16_e32 v62, v63, v62
	s_delay_alu instid0(VALU_DEP_2) | instskip(NEXT) | instid1(VALU_DEP_1)
	v_add_f16_e64 v61, v226, v61
	v_add_f16_e64 v61, v227, v61
	s_delay_alu instid0(VALU_DEP_1) | instskip(NEXT) | instid1(VALU_DEP_1)
	v_add_f16_e64 v61, v231, v61
	v_add_f16_e64 v61, v233, v61
	s_delay_alu instid0(VALU_DEP_1)
	v_pack_b32_f16 v49, v61, v49
	s_wait_loadcnt 0x0
	v_fma_f16 v63, v186, 0xbbdd, -v27
	scratch_load_b32 v27, off, off offset:40 th:TH_LOAD_LU ; 4-byte Folded Reload
	v_add_f16_e32 v62, v63, v62
	s_wait_loadcnt 0x0
	v_add_f16_e64 v64, v205, v27
	v_mul_f16_e32 v27, 0x3836, v52
	s_delay_alu instid0(VALU_DEP_2) | instskip(NEXT) | instid1(VALU_DEP_2)
	v_add_f16_e64 v64, v209, v64
	v_fma_f16 v63, v187, 0xbacd, -v27
	v_mul_f16_e64 v27, 0x3bb2, v174
	s_delay_alu instid0(VALU_DEP_3) | instskip(NEXT) | instid1(VALU_DEP_3)
	v_add_f16_e64 v64, v211, v64
	v_add_f16_e32 v62, v63, v62
	s_delay_alu instid0(VALU_DEP_3) | instskip(SKIP_1) | instid1(VALU_DEP_4)
	v_fma_f16 v63, v188, 0xb461, -v27
	v_mul_f16_e64 v27, 0x3b29, v180
	v_add_f16_e64 v64, v213, v64
	s_delay_alu instid0(VALU_DEP_3) | instskip(NEXT) | instid1(VALU_DEP_3)
	v_add_f16_e32 v62, v63, v62
	v_fma_f16 v63, v189, 0x3722, -v27
	v_mul_f16_e64 v27, 0x35c8, v184
	s_delay_alu instid0(VALU_DEP_2) | instskip(SKIP_2) | instid1(VALU_DEP_4)
	v_add_f16_e32 v62, v63, v62
	v_add_f16_e64 v63, v214, v64
	v_add_f16_e64 v64, v146, v65
	v_fma_f16 v65, v190, 0x3b76, -v27
	scratch_load_b32 v27, off, off offset:104 th:TH_LOAD_LU ; 4-byte Folded Reload
	v_add_f16_e64 v63, v217, v63
	v_add_f16_e64 v64, v143, v64
	v_add_f16_e32 v62, v65, v62
	s_delay_alu instid0(VALU_DEP_3) | instskip(NEXT) | instid1(VALU_DEP_3)
	v_add_f16_e32 v32, v32, v63
	v_add_f16_e64 v64, v142, v64
	s_delay_alu instid0(VALU_DEP_2) | instskip(NEXT) | instid1(VALU_DEP_2)
	v_pack_b32_f16 v32, v32, v62
	v_add_f16_e64 v64, v138, v64
	s_delay_alu instid0(VALU_DEP_1) | instskip(NEXT) | instid1(VALU_DEP_1)
	v_add_f16_e64 v64, v150, v64
	v_add_f16_e64 v64, v149, v64
	s_delay_alu instid0(VALU_DEP_1) | instskip(NEXT) | instid1(VALU_DEP_1)
	v_add_f16_e64 v64, v145, v64
	v_add_f16_e64 v64, v144, v64
	s_delay_alu instid0(VALU_DEP_1) | instskip(NEXT) | instid1(VALU_DEP_1)
	v_add_f16_e64 v64, v141, v64
	v_add_f16_e64 v64, v140, v64
	s_delay_alu instid0(VALU_DEP_1) | instskip(NEXT) | instid1(VALU_DEP_1)
	v_add_f16_e64 v64, v139, v64
	v_add_f16_e64 v64, v137, v64
	s_delay_alu instid0(VALU_DEP_1) | instskip(SKIP_4) | instid1(VALU_DEP_1)
	v_add_f16_e64 v64, v164, v64
	s_wait_loadcnt 0x0
	v_sub_f16_e32 v68, v27, v68
	scratch_load_b32 v27, off, off offset:96 th:TH_LOAD_LU ; 4-byte Folded Reload
	v_add_f16_e64 v68, v151, v68
	v_add_f16_e32 v68, v75, v68
	v_mul_f16_e32 v75, 0xbb29, v123
	s_wait_loadcnt 0x0
	v_add_f16_e32 v76, v76, v27
	scratch_load_b32 v27, off, off offset:128 th:TH_LOAD_LU ; 4-byte Folded Reload
	s_wait_loadcnt 0x0
	v_sub_f16_e32 v75, v27, v75
	scratch_load_b32 v27, off, off offset:28 th:TH_LOAD_LU ; 4-byte Folded Reload
	v_add_f16_e32 v68, v75, v68
	v_mul_f16_e32 v75, 0xbbf7, v51
	s_wait_loadcnt 0x0
	v_add_f16_e32 v30, v76, v27
	scratch_load_b32 v27, off, off offset:88 th:TH_LOAD_LU ; 4-byte Folded Reload
	v_mul_f16_e64 v76, 0x3722, v159
	s_wait_loadcnt 0x0
	s_delay_alu instid0(VALU_DEP_1)
	v_add_f16_e32 v76, v76, v27
	scratch_load_b32 v27, off, off offset:124 th:TH_LOAD_LU ; 4-byte Folded Reload
	v_add_f16_e32 v30, v76, v30
	v_mul_f16_e64 v76, 0x2de8, v163
	s_wait_loadcnt 0x0
	v_sub_f16_e32 v75, v27, v75
	scratch_load_b32 v27, off, off offset:100 th:TH_LOAD_LU ; 4-byte Folded Reload
	v_add_f16_e32 v68, v75, v68
	v_mul_f16_e32 v75, 0xbbb2, v52
	s_wait_loadcnt 0x0
	v_add_f16_e32 v76, v76, v27
	scratch_load_b32 v27, off, off offset:120 th:TH_LOAD_LU ; 4-byte Folded Reload
	v_add_f16_e32 v30, v76, v30
	v_mul_f16_e64 v76, 0xb461, v167
	s_wait_loadcnt 0x0
	v_sub_f16_e32 v75, v27, v75
	scratch_load_b32 v27, off, off offset:92 th:TH_LOAD_LU ; 4-byte Folded Reload
	v_add_f16_e32 v68, v75, v68
	v_mul_f16_e64 v75, 0xba62, v174
	s_wait_loadcnt 0x0
	v_add_f16_e32 v76, v76, v27
	scratch_load_b32 v27, off, off offset:112 th:TH_LOAD_LU ; 4-byte Folded Reload
	v_add_f16_e32 v30, v76, v30
	v_mul_f16_e64 v76, 0xb8d2, v171
	s_wait_loadcnt 0x0
	v_sub_f16_e32 v75, v27, v75
	scratch_load_b32 v27, off, off offset:84 th:TH_LOAD_LU ; 4-byte Folded Reload
	v_add_f16_e32 v68, v75, v68
	v_mul_f16_e64 v75, 0xb836, v180
	;; [unrolled: 10-line block ×3, first 2 shown]
	s_delay_alu instid0(VALU_DEP_1) | instskip(NEXT) | instid1(VALU_DEP_1)
	v_sub_f16_e32 v75, v60, v75
	v_add_f16_e32 v68, v75, v68
	v_dual_mov_b32 v248, v128 :: v_dual_and_b32 v75, 0xffff, v33
	v_dual_mov_b32 v128, v129 :: v_dual_mov_b32 v129, v130
	s_delay_alu instid0(VALU_DEP_2)
	v_dual_mov_b32 v130, v131 :: v_dual_lshlrev_b32 v63, 2, v75
	v_dual_mov_b32 v131, v132 :: v_dual_mov_b32 v132, v177
	s_wait_loadcnt 0x0
	v_add_f16_e32 v76, v76, v27
	scratch_load_b32 v27, off, off offset:76 th:TH_LOAD_LU ; 4-byte Folded Reload
	v_add_f16_e32 v30, v76, v30
	v_mul_f16_e64 v76, 0xbbdd, v179
	s_wait_loadcnt 0x0
	s_delay_alu instid0(VALU_DEP_1) | instskip(SKIP_2) | instid1(VALU_DEP_1)
	v_add_f16_e32 v76, v76, v27
	scratch_load_b32 v27, off, off offset:16 th:TH_LOAD_LU ; 4-byte Folded Reload
	v_add_f16_e32 v30, v76, v30
	v_pack_b32_f16 v30, v30, v68
	s_wait_loadcnt 0x0
	v_add_f16_e64 v27, v133, v27
	s_delay_alu instid0(VALU_DEP_1)
	v_pack_b32_f16 v27, v27, v64
	ds_store_2addr_b32 v63, v27, v30 offset1:1
	ds_store_2addr_b32 v63, v32, v49 offset0:2 offset1:3
	ds_store_2addr_b32 v63, v34, v36 offset0:4 offset1:5
	;; [unrolled: 1-line block ×3, first 2 shown]
	s_clause 0x1
	scratch_load_b32 v14, off, off offset:68 th:TH_LOAD_LU
	scratch_load_b32 v28, off, off offset:72 th:TH_LOAD_LU
	v_pack_b32_f16 v27, v38, v95
	v_mov_b32_e32 v95, v41
	v_pack_b32_f16 v30, v45, v94
	v_mov_b32_e32 v94, v42
	s_wait_loadcnt 0x0
	v_pack_b32_f16 v32, v28, v14
	s_clause 0x2
	scratch_load_b32 v14, off, off offset:116 th:TH_LOAD_LU
	scratch_load_b32 v28, off, off offset:44 th:TH_LOAD_LU
	;; [unrolled: 1-line block ×3, first 2 shown]
	s_wait_loadcnt 0x2
	v_pack_b32_f16 v14, v39, v14
	s_wait_loadcnt 0x0
	v_pack_b32_f16 v34, v29, v28
	s_clause 0x1
	scratch_load_b32 v28, off, off offset:60 th:TH_LOAD_LU
	scratch_load_b32 v29, off, off offset:64 th:TH_LOAD_LU
	s_wait_loadcnt 0x0
	v_pack_b32_f16 v35, v29, v28
	s_clause 0x1
	scratch_load_b32 v28, off, off offset:20 th:TH_LOAD_LU
	scratch_load_b32 v29, off, off offset:24 th:TH_LOAD_LU
	;; [unrolled: 5-line block ×3, first 2 shown]
	s_wait_loadcnt 0x0
	v_pack_b32_f16 v29, v31, v29
	v_perm_b32 v31, v161, v134, 0x5040100
	ds_store_2addr_b32 v63, v30, v27 offset0:8 offset1:9
	ds_store_2addr_b32 v63, v14, v32 offset0:10 offset1:11
	;; [unrolled: 1-line block ×4, first 2 shown]
	ds_store_b32 v63, v31 offset:64
.LBB0_17:
	s_wait_alu 0xfffe
	s_or_b32 exec_lo, exec_lo, s1
	v_add_nc_u32_e32 v14, 0xc00, v50
	v_add_nc_u32_e32 v43, 0x200, v50
	;; [unrolled: 1-line block ×7, first 2 shown]
	global_wb scope:SCOPE_SE
	s_wait_storecnt_dscnt 0x0
	s_barrier_signal -1
	s_barrier_wait -1
	global_inv scope:SCOPE_SE
	ds_load_2addr_b32 v[27:28], v50 offset1:102
	ds_load_2addr_b32 v[29:30], v14 offset0:48 offset1:150
	ds_load_2addr_b32 v[31:32], v43 offset0:76 offset1:178
	;; [unrolled: 1-line block ×7, first 2 shown]
	scratch_load_b32 v51, off, off offset:8 th:TH_LOAD_LU ; 4-byte Folded Reload
	s_wait_dscnt 0x7
	v_lshrrev_b32_e32 v60, 16, v27
	s_wait_dscnt 0x6
	v_lshrrev_b32_e32 v62, 16, v29
	v_lshrrev_b32_e32 v63, 16, v30
	s_wait_dscnt 0x4
	v_lshrrev_b32_e32 v65, 16, v33
	v_mul_f16_e32 v83, v85, v29
	v_lshrrev_b32_e32 v75, 16, v34
	v_mul_f16_e32 v81, v85, v62
	s_wait_dscnt 0x2
	v_lshrrev_b32_e32 v77, 16, v37
	v_lshrrev_b32_e32 v79, 16, v38
	s_wait_dscnt 0x0
	v_lshrrev_b32_e32 v85, 16, v42
	v_lshrrev_b32_e32 v82, 16, v41
	v_fmac_f16_e32 v81, v58, v29
	v_mul_f16_e64 v29, v128, v63
	v_fma_f16 v58, v58, v62, -v83
	v_mul_f16_e32 v83, v86, v65
	v_mul_f16_e32 v86, v86, v33
	v_mul_f16_e64 v62, v128, v30
	v_fmac_f16_e32 v29, v57, v30
	v_mul_f16_e64 v30, v248, v75
	v_fmac_f16_e32 v83, v56, v33
	v_fma_f16 v33, v56, v65, -v86
	v_mul_f16_e64 v56, v248, v34
	v_fma_f16 v57, v57, v63, -v62
	v_fmac_f16_e32 v30, v55, v34
	v_mul_f16_e32 v34, v127, v77
	v_mul_f16_e32 v62, v127, v37
	v_mul_f16_e64 v63, v247, v79
	v_fma_f16 v55, v55, v75, -v56
	v_mul_f16_e64 v56, v247, v38
	v_fmac_f16_e32 v34, v54, v37
	v_fma_f16 v37, v54, v77, -v62
	v_fmac_f16_e32 v63, v53, v38
	v_mul_f16_e32 v38, v125, v82
	v_fma_f16 v53, v53, v79, -v56
	v_mul_f16_e32 v54, v125, v41
	v_lshrrev_b32_e32 v61, 16, v28
	v_lshrrev_b32_e32 v64, 16, v31
	;; [unrolled: 1-line block ×4, first 2 shown]
	v_sub_f16_e32 v29, v28, v29
	v_lshrrev_b32_e32 v78, 16, v36
	v_sub_f16_e32 v33, v64, v33
	v_lshrrev_b32_e32 v80, 16, v39
	v_lshrrev_b32_e32 v84, 16, v40
	v_sub_f16_e32 v30, v32, v30
	v_sub_f16_e32 v55, v68, v55
	v_fma_f16 v28, v28, 2.0, -v29
	v_sub_f16_e32 v34, v35, v34
	v_sub_f16_e32 v37, v76, v37
	;; [unrolled: 1-line block ×3, first 2 shown]
	v_fma_f16 v32, v32, 2.0, -v30
	s_delay_alu instid0(VALU_DEP_4) | instskip(NEXT) | instid1(VALU_DEP_3)
	v_fma_f16 v35, v35, 2.0, -v34
	v_fma_f16 v65, v78, 2.0, -v53
	s_wait_loadcnt 0x0
	v_mul_f16_e32 v56, v51, v85
	v_mul_f16_e32 v62, v51, v42
	scratch_load_b32 v51, off, off offset:4 th:TH_LOAD_LU ; 4-byte Folded Reload
	s_wait_loadcnt 0x0
	v_fmac_f16_e32 v38, v51, v41
	v_fma_f16 v52, v51, v82, -v54
	scratch_load_b32 v51, off, off th:TH_LOAD_LU ; 4-byte Folded Reload
	v_sub_f16_e32 v41, v27, v81
	v_sub_f16_e32 v54, v61, v57
	;; [unrolled: 1-line block ×5, first 2 shown]
	v_fma_f16 v27, v27, 2.0, -v41
	v_pack_b32_f16 v29, v29, v54
	v_fma_f16 v31, v31, 2.0, -v57
	v_fma_f16 v39, v39, 2.0, -v38
	global_wb scope:SCOPE_SE
	s_wait_loadcnt 0x0
	s_barrier_signal -1
	s_barrier_wait -1
	global_inv scope:SCOPE_SE
	v_fmac_f16_e32 v56, v51, v42
	v_fma_f16 v42, v51, v85, -v62
	v_sub_f16_e32 v51, v60, v58
	v_sub_f16_e32 v62, v36, v63
	v_fma_f16 v63, v68, 2.0, -v55
	v_sub_f16_e32 v56, v40, v56
	v_sub_f16_e32 v42, v84, v42
	v_fma_f16 v58, v60, 2.0, -v51
	v_fma_f16 v60, v61, 2.0, -v54
	;; [unrolled: 1-line block ×3, first 2 shown]
	v_pack_b32_f16 v41, v41, v51
	v_fma_f16 v64, v76, 2.0, -v37
	v_pack_b32_f16 v27, v27, v58
	v_pack_b32_f16 v28, v28, v60
	v_fma_f16 v36, v36, 2.0, -v62
	v_pack_b32_f16 v31, v31, v61
	v_pack_b32_f16 v33, v57, v33
	v_fma_f16 v68, v80, 2.0, -v52
	v_fma_f16 v40, v40, 2.0, -v56
	;; [unrolled: 1-line block ×3, first 2 shown]
	ds_store_2addr_b32 v87, v27, v41 offset1:17
	ds_store_2addr_b32 v88, v28, v29 offset1:17
	;; [unrolled: 1-line block ×3, first 2 shown]
	v_pack_b32_f16 v27, v32, v63
	v_pack_b32_f16 v28, v30, v55
	;; [unrolled: 1-line block ×10, first 2 shown]
	ds_store_2addr_b32 v89, v27, v28 offset1:17
	ds_store_2addr_b32 v90, v29, v30 offset1:17
	;; [unrolled: 1-line block ×5, first 2 shown]
	global_wb scope:SCOPE_SE
	s_wait_dscnt 0x0
	s_barrier_signal -1
	s_barrier_wait -1
	global_inv scope:SCOPE_SE
	ds_load_2addr_b32 v[27:28], v50 offset1:102
	ds_load_2addr_b32 v[29:30], v14 offset0:48 offset1:150
	ds_load_2addr_b32 v[31:32], v43 offset0:76 offset1:178
	;; [unrolled: 1-line block ×7, first 2 shown]
	global_wb scope:SCOPE_SE
	s_wait_dscnt 0x0
	s_barrier_signal -1
	s_barrier_wait -1
	global_inv scope:SCOPE_SE
	v_lshrrev_b32_e32 v45, 16, v27
	v_lshrrev_b32_e32 v46, 16, v29
	;; [unrolled: 1-line block ×4, first 2 shown]
	v_mul_f16_e64 v64, v252, v29
	v_lshrrev_b32_e32 v55, 16, v34
	v_mul_f16_e64 v62, v252, v46
	v_mul_f16_e64 v75, v250, v33
	v_lshrrev_b32_e32 v57, 16, v37
	v_fma_f16 v46, v74, v46, -v64
	v_lshrrev_b32_e32 v60, 16, v38
	v_fmac_f16_e32 v62, v74, v29
	v_mul_f16_e64 v29, v251, v51
	v_mul_f16_e64 v74, v250, v53
	;; [unrolled: 1-line block ×3, first 2 shown]
	v_lshrrev_b32_e32 v63, 16, v41
	v_lshrrev_b32_e32 v68, 16, v42
	v_fmac_f16_e32 v29, v73, v30
	v_mul_f16_e64 v30, v249, v55
	v_fmac_f16_e32 v74, v72, v33
	v_fma_f16 v33, v72, v53, -v75
	v_mul_f16_e64 v53, v249, v34
	v_fma_f16 v51, v73, v51, -v64
	v_fmac_f16_e32 v30, v71, v34
	v_mul_f16_e64 v34, v132, v57
	v_mul_f16_e64 v64, v132, v37
	;; [unrolled: 1-line block ×3, first 2 shown]
	v_fma_f16 v53, v71, v55, -v53
	v_mul_f16_e64 v55, v131, v38
	v_lshrrev_b32_e32 v47, 16, v28
	v_lshrrev_b32_e32 v52, 16, v31
	v_fmac_f16_e32 v34, v70, v37
	v_fma_f16 v37, v70, v57, -v64
	v_fmac_f16_e32 v72, v69, v38
	v_mul_f16_e64 v38, v130, v63
	v_mul_f16_e64 v57, v130, v41
	v_fma_f16 v55, v69, v60, -v55
	v_mul_f16_e64 v60, v129, v68
	v_mul_f16_e64 v64, v129, v42
	v_lshrrev_b32_e32 v54, 16, v32
	v_sub_f16_e32 v62, v27, v62
	v_sub_f16_e32 v46, v45, v46
	v_lshrrev_b32_e32 v56, 16, v35
	v_sub_f16_e32 v29, v28, v29
	v_sub_f16_e32 v51, v47, v51
	v_lshrrev_b32_e32 v58, 16, v36
	v_fmac_f16_e32 v38, v67, v41
	v_fma_f16 v41, v67, v63, -v57
	v_sub_f16_e32 v57, v31, v74
	v_sub_f16_e32 v33, v52, v33
	v_lshrrev_b32_e32 v61, 16, v39
	v_lshrrev_b32_e32 v65, 16, v40
	v_fmac_f16_e32 v60, v66, v42
	v_fma_f16 v42, v66, v68, -v64
	v_fma_f16 v27, v27, 2.0, -v62
	v_fma_f16 v45, v45, 2.0, -v46
	v_sub_f16_e32 v30, v32, v30
	v_sub_f16_e32 v53, v54, v53
	v_fma_f16 v28, v28, 2.0, -v29
	v_fma_f16 v47, v47, 2.0, -v51
	v_sub_f16_e32 v34, v35, v34
	v_sub_f16_e32 v37, v56, v37
	v_fma_f16 v31, v31, 2.0, -v57
	v_fma_f16 v52, v52, 2.0, -v33
	v_sub_f16_e32 v63, v36, v72
	v_sub_f16_e32 v55, v58, v55
	v_sub_f16_e32 v38, v39, v38
	v_sub_f16_e32 v64, v61, v41
	;; [unrolled: 1-line block ×4, first 2 shown]
	v_fma_f16 v32, v32, 2.0, -v30
	v_fma_f16 v54, v54, 2.0, -v53
	v_pack_b32_f16 v27, v27, v45
	v_pack_b32_f16 v45, v62, v46
	v_fma_f16 v35, v35, 2.0, -v34
	v_fma_f16 v56, v56, 2.0, -v37
	v_pack_b32_f16 v28, v28, v47
	v_pack_b32_f16 v29, v29, v51
	;; [unrolled: 4-line block ×3, first 2 shown]
	v_fma_f16 v39, v39, 2.0, -v38
	v_fma_f16 v60, v61, 2.0, -v64
	;; [unrolled: 1-line block ×4, first 2 shown]
	ds_store_2addr_b32 v91, v27, v45 offset1:34
	ds_store_2addr_b32 v95, v28, v29 offset1:34
	;; [unrolled: 1-line block ×3, first 2 shown]
	v_pack_b32_f16 v27, v32, v54
	v_pack_b32_f16 v28, v30, v53
	;; [unrolled: 1-line block ×10, first 2 shown]
	ds_store_2addr_b32 v92, v27, v28 offset1:34
	ds_store_2addr_b32 v93, v29, v30 offset1:34
	;; [unrolled: 1-line block ×5, first 2 shown]
	v_add_nc_u32_e32 v27, 0x600, v50
	v_add_nc_u32_e32 v29, 0x1000, v50
	global_wb scope:SCOPE_SE
	s_wait_dscnt 0x0
	s_barrier_signal -1
	s_barrier_wait -1
	global_inv scope:SCOPE_SE
	ds_load_2addr_b32 v[31:32], v50 offset1:102
	ds_load_2addr_b32 v[27:28], v27 offset0:24 offset1:160
	ds_load_2addr_b32 v[39:40], v29 offset0:64 offset1:166
	;; [unrolled: 1-line block ×6, first 2 shown]
	ds_load_b32 v49, v50 offset:5984
	s_and_saveexec_b32 s1, s0
	s_cbranch_execz .LBB0_19
; %bb.18:
	ds_load_b32 v41, v50 offset:2040
	ds_load_b32 v134, v50 offset:4216
	ds_load_b32 v108, v50 offset:6392
	s_wait_dscnt 0x2
	v_lshrrev_b32_e32 v42, 16, v41
	s_wait_dscnt 0x1
	v_lshrrev_b32_e32 v161, 16, v134
	;; [unrolled: 2-line block ×3, first 2 shown]
.LBB0_19:
	s_wait_alu 0xfffe
	s_or_b32 exec_lo, exec_lo, s1
	s_wait_dscnt 0x6
	v_lshrrev_b32_e32 v43, 16, v28
	v_lshrrev_b32_e32 v61, 16, v25
	s_wait_dscnt 0x5
	v_lshrrev_b32_e32 v45, 16, v39
	v_lshrrev_b32_e32 v64, 16, v26
	;; [unrolled: 3-line block ×3, first 2 shown]
	v_mul_f16_e32 v59, v61, v43
	v_mul_f16_e32 v61, v61, v28
	;; [unrolled: 1-line block ×3, first 2 shown]
	v_lshrrev_b32_e32 v53, 16, v38
	s_wait_dscnt 0x2
	v_lshrrev_b32_e32 v54, 16, v35
	v_fmac_f16_e32 v59, v25, v28
	v_mul_f16_e32 v28, v64, v39
	v_fma_f16 v25, v25, v43, -v61
	v_lshrrev_b32_e32 v61, 16, v23
	v_fmac_f16_e32 v63, v26, v39
	s_wait_dscnt 0x1
	v_lshrrev_b32_e32 v56, 16, v33
	v_fma_f16 v26, v26, v45, -v28
	v_lshrrev_b32_e32 v45, 16, v24
	v_mul_f16_e32 v43, v61, v47
	v_mul_f16_e32 v39, v61, v37
	v_lshrrev_b32_e32 v57, 16, v36
	v_lshrrev_b32_e32 v60, 16, v34
	v_mul_f16_e32 v28, v45, v51
	v_fmac_f16_e32 v43, v23, v37
	v_mul_f16_e32 v37, v45, v40
	v_lshrrev_b32_e32 v45, 16, v21
	v_fma_f16 v23, v23, v47, -v39
	v_fmac_f16_e32 v28, v24, v40
	s_wait_dscnt 0x0
	v_lshrrev_b32_e32 v62, 16, v49
	v_fma_f16 v24, v24, v51, -v37
	v_mul_f16_e32 v39, v45, v53
	v_mul_f16_e32 v40, v45, v38
	v_mul_f16_e64 v37, v255, v54
	v_lshrrev_b32_e32 v14, 16, v31
	v_add_f16_e32 v45, v31, v59
	v_fmac_f16_e32 v39, v21, v38
	v_mul_f16_e64 v38, v255, v35
	v_fma_f16 v21, v21, v53, -v40
	v_mul_f16_e64 v40, v254, v56
	v_fmac_f16_e32 v37, v22, v35
	v_mul_f16_e64 v35, v254, v33
	v_fma_f16 v22, v22, v54, -v38
	v_mul_f16_e64 v38, v253, v57
	v_fmac_f16_e32 v40, v19, v33
	v_mul_f16_e64 v33, v253, v36
	v_fma_f16 v19, v19, v56, -v35
	v_mul_f16_e32 v35, v121, v60
	v_fmac_f16_e32 v38, v20, v36
	v_mul_f16_e32 v36, v121, v34
	v_fma_f16 v20, v20, v57, -v33
	v_mul_f16_e32 v33, v119, v62
	v_fmac_f16_e32 v35, v17, v34
	v_mul_f16_e32 v34, v119, v49
	v_fma_f16 v17, v17, v60, -v36
	v_add_f16_e32 v36, v59, v63
	v_fmac_f16_e32 v33, v18, v49
	v_lshrrev_b32_e32 v46, 16, v32
	v_fma_f16 v18, v18, v62, -v34
	v_add_f16_e32 v34, v25, v26
	v_fma_f16 v31, -0.5, v36, v31
	v_sub_f16_e32 v36, v25, v26
	v_add_f16_e32 v25, v14, v25
	v_add_f16_e32 v49, v32, v43
	v_fmac_f16_e32 v14, -0.5, v34
	v_sub_f16_e32 v34, v59, v63
	v_fmamk_f16 v47, v36, 0xbaee, v31
	v_add_f16_e32 v25, v25, v26
	v_add_f16_e32 v26, v43, v28
	v_fmac_f16_e32 v31, 0x3aee, v36
	v_fmamk_f16 v36, v34, 0x3aee, v14
	v_fmac_f16_e32 v14, 0xbaee, v34
	v_add_f16_e32 v34, v23, v24
	v_fmac_f16_e32 v32, -0.5, v26
	v_sub_f16_e32 v26, v23, v24
	v_add_f16_e32 v23, v46, v23
	v_add_f16_e32 v49, v49, v28
	v_fmac_f16_e32 v46, -0.5, v34
	v_sub_f16_e32 v28, v43, v28
	v_lshrrev_b32_e32 v52, 16, v29
	v_add_f16_e32 v23, v23, v24
	v_add_f16_e32 v24, v39, v37
	v_fmamk_f16 v34, v26, 0xbaee, v32
	v_fmac_f16_e32 v32, 0x3aee, v26
	v_fmamk_f16 v26, v28, 0x3aee, v46
	v_fmac_f16_e32 v46, 0xbaee, v28
	v_add_f16_e32 v28, v21, v22
	v_add_f16_e32 v43, v29, v39
	v_fma_f16 v24, -0.5, v24, v29
	v_sub_f16_e32 v29, v21, v22
	v_add_f16_e32 v21, v52, v21
	v_fmac_f16_e32 v52, -0.5, v28
	v_sub_f16_e32 v28, v39, v37
	v_lshrrev_b32_e32 v55, 16, v30
	v_add_f16_e32 v43, v43, v37
	v_add_f16_e32 v21, v21, v22
	;; [unrolled: 1-line block ×3, first 2 shown]
	v_fmamk_f16 v37, v29, 0xbaee, v24
	v_fmac_f16_e32 v24, 0x3aee, v29
	v_fmamk_f16 v29, v28, 0x3aee, v52
	v_fmac_f16_e32 v52, 0xbaee, v28
	v_add_f16_e32 v28, v19, v20
	v_add_f16_e32 v39, v30, v40
	v_fmac_f16_e32 v30, -0.5, v22
	v_sub_f16_e32 v22, v19, v20
	v_add_f16_e32 v19, v55, v19
	v_fmac_f16_e32 v55, -0.5, v28
	v_sub_f16_e32 v28, v40, v38
	v_lshrrev_b32_e32 v58, 16, v27
	v_add_f16_e32 v39, v39, v38
	v_add_f16_e32 v19, v19, v20
	;; [unrolled: 1-line block ×3, first 2 shown]
	v_fmamk_f16 v38, v22, 0xbaee, v30
	v_fmac_f16_e32 v30, 0x3aee, v22
	v_fmamk_f16 v22, v28, 0x3aee, v55
	v_fmac_f16_e32 v55, 0xbaee, v28
	v_add_f16_e32 v28, v17, v18
	v_add_f16_e32 v45, v45, v63
	;; [unrolled: 1-line block ×3, first 2 shown]
	v_fmac_f16_e32 v27, -0.5, v20
	v_sub_f16_e32 v20, v17, v18
	v_add_f16_e32 v17, v58, v17
	v_fmac_f16_e32 v58, -0.5, v28
	v_sub_f16_e32 v28, v35, v33
	v_pack_b32_f16 v14, v31, v14
	v_fmamk_f16 v35, v20, 0xbaee, v27
	v_fmac_f16_e32 v27, 0x3aee, v20
	v_pack_b32_f16 v20, v45, v25
	v_pack_b32_f16 v25, v47, v36
	;; [unrolled: 1-line block ×4, first 2 shown]
	v_add_f16_e32 v33, v40, v33
	v_add_f16_e32 v17, v17, v18
	v_fmamk_f16 v18, v28, 0x3aee, v58
	v_fmac_f16_e32 v58, 0xbaee, v28
	v_pack_b32_f16 v28, v32, v46
	v_pack_b32_f16 v21, v43, v21
	;; [unrolled: 1-line block ×3, first 2 shown]
	global_wb scope:SCOPE_SE
	s_barrier_signal -1
	s_barrier_wait -1
	global_inv scope:SCOPE_SE
	ds_store_2addr_b32 v104, v20, v25 offset1:68
	ds_store_b32 v104, v14 offset:544
	ds_store_2addr_b32 v106, v23, v26 offset1:68
	ds_store_b32 v106, v28 offset:544
	ds_store_2addr_b32 v102, v21, v29 offset1:68
	v_pack_b32_f16 v14, v24, v52
	v_pack_b32_f16 v19, v39, v19
	;; [unrolled: 1-line block ×7, first 2 shown]
	ds_store_b32 v102, v14 offset:544
	ds_store_2addr_b32 v101, v19, v20 offset1:68
	ds_store_b32 v101, v21 offset:544
	ds_store_2addr_b32 v100, v17, v18 offset1:68
	ds_store_b32 v100, v22 offset:544
	s_and_saveexec_b32 s1, s0
	s_cbranch_execz .LBB0_21
; %bb.20:
	v_mul_f16_e32 v14, v103, v108
	v_mul_f16_e64 v17, v105, v134
	v_mul_f16_e64 v18, v105, v161
	v_mul_f16_e32 v19, v103, v109
	s_delay_alu instid0(VALU_DEP_4) | instskip(NEXT) | instid1(VALU_DEP_4)
	v_fma_f16 v14, v16, v109, -v14
	v_fma_f16 v17, v15, v161, -v17
	s_delay_alu instid0(VALU_DEP_4) | instskip(NEXT) | instid1(VALU_DEP_4)
	v_fmac_f16_e64 v18, v15, v134
	v_fmac_f16_e32 v19, v16, v108
	v_lshlrev_b32_e32 v15, 2, v99
	s_delay_alu instid0(VALU_DEP_4) | instskip(SKIP_1) | instid1(VALU_DEP_4)
	v_add_f16_e32 v16, v17, v14
	v_add_f16_e32 v20, v17, v42
	;; [unrolled: 1-line block ×4, first 2 shown]
	v_sub_f16_e32 v18, v18, v19
	v_fmac_f16_e32 v42, -0.5, v16
	v_sub_f16_e32 v16, v17, v14
	v_fmac_f16_e32 v41, -0.5, v21
	v_add_f16_e32 v14, v14, v20
	v_add_f16_e32 v17, v22, v19
	v_fmamk_f16 v19, v18, 0xbaee, v42
	v_fmac_f16_e32 v42, 0x3aee, v18
	v_fmamk_f16 v18, v16, 0x3aee, v41
	v_fmac_f16_e32 v41, 0xbaee, v16
	v_add_nc_u32_e32 v16, 0x1400, v15
	v_pack_b32_f16 v14, v17, v14
	s_delay_alu instid0(VALU_DEP_4) | instskip(NEXT) | instid1(VALU_DEP_4)
	v_pack_b32_f16 v18, v18, v19
	v_pack_b32_f16 v17, v41, v42
	ds_store_2addr_b32 v16, v14, v17 offset0:148 offset1:216
	ds_store_b32 v15, v18 offset:6256
.LBB0_21:
	s_wait_alu 0xfffe
	s_or_b32 exec_lo, exec_lo, s1
	v_add_nc_u32_e32 v14, 0x200, v50
	v_add_nc_u32_e32 v31, 0x400, v50
	global_wb scope:SCOPE_SE
	s_wait_dscnt 0x0
	s_barrier_signal -1
	s_barrier_wait -1
	global_inv scope:SCOPE_SE
	ds_load_2addr_b32 v[15:16], v50 offset1:102
	ds_load_2addr_b32 v[17:18], v14 offset0:76 offset1:178
	ds_load_2addr_b32 v[19:20], v31 offset0:152 offset1:254
	v_add_nc_u32_e32 v32, 0x800, v50
	v_add_nc_u32_e32 v33, 0xc00, v50
	;; [unrolled: 1-line block ×5, first 2 shown]
	ds_load_2addr_b32 v[21:22], v32 offset0:100 offset1:202
	ds_load_2addr_b32 v[23:24], v33 offset0:48 offset1:150
	;; [unrolled: 1-line block ×5, first 2 shown]
	s_wait_dscnt 0x7
	v_lshrrev_b32_e32 v37, 16, v15
	s_wait_dscnt 0x6
	v_lshrrev_b32_e32 v38, 16, v17
	;; [unrolled: 2-line block ×3, first 2 shown]
	v_mul_f16_e32 v55, v126, v17
	s_wait_dscnt 0x4
	v_lshrrev_b32_e32 v40, 16, v21
	s_wait_dscnt 0x3
	v_lshrrev_b32_e32 v41, 16, v23
	v_mul_f16_e32 v54, v126, v38
	v_mul_f16_e32 v58, v124, v39
	s_wait_dscnt 0x2
	v_lshrrev_b32_e32 v42, 16, v25
	s_wait_dscnt 0x1
	v_lshrrev_b32_e32 v43, 16, v27
	;; [unrolled: 2-line block ×3, first 2 shown]
	v_fmac_f16_e32 v54, v4, v17
	v_fma_f16 v4, v4, v38, -v55
	v_mul_f16_e32 v17, v124, v19
	v_mul_f16_e32 v38, v122, v40
	v_fmac_f16_e32 v58, v5, v19
	v_mul_f16_e32 v19, v122, v21
	v_mul_f16_e32 v55, v120, v41
	v_fma_f16 v5, v5, v39, -v17
	v_fmac_f16_e32 v38, v6, v21
	v_mul_f16_e32 v17, v120, v23
	v_fma_f16 v6, v6, v40, -v19
	v_mul_f16_e32 v19, v118, v42
	v_mul_f16_e32 v21, v118, v25
	v_lshrrev_b32_e32 v47, 16, v18
	v_lshrrev_b32_e32 v49, 16, v20
	v_fmac_f16_e32 v55, v7, v23
	v_fma_f16 v7, v7, v41, -v17
	v_mul_f16_e32 v17, v117, v43
	v_mul_f16_e32 v23, v117, v27
	v_fmac_f16_e32 v19, v11, v25
	v_fma_f16 v11, v11, v42, -v21
	v_mul_f16_e32 v21, v116, v45
	v_lshrrev_b32_e32 v51, 16, v22
	v_fmac_f16_e32 v17, v12, v27
	v_fma_f16 v12, v12, v43, -v23
	v_mul_f16_e32 v23, v116, v29
	v_mul_f16_e32 v25, v115, v47
	v_fmac_f16_e32 v21, v13, v29
	v_mul_f16_e32 v29, v114, v49
	v_lshrrev_b32_e32 v52, 16, v24
	v_lshrrev_b32_e32 v53, 16, v26
	v_mul_f16_e32 v27, v115, v18
	v_fma_f16 v13, v13, v45, -v23
	v_fmac_f16_e32 v25, v0, v18
	v_mul_f16_e32 v18, v114, v20
	v_fmac_f16_e32 v29, v1, v20
	v_mul_f16_e32 v20, v113, v51
	v_mul_f16_e32 v23, v113, v22
	v_lshrrev_b32_e32 v56, 16, v28
	v_fma_f16 v1, v1, v49, -v18
	v_mul_f16_e32 v18, v112, v52
	v_fmac_f16_e32 v20, v2, v22
	v_fma_f16 v2, v2, v51, -v23
	v_mul_f16_e32 v22, v111, v53
	v_mul_f16_e32 v23, v111, v26
	v_fma_f16 v0, v0, v47, -v27
	v_mul_f16_e32 v27, v112, v24
	v_fmac_f16_e32 v18, v3, v24
	v_mul_f16_e32 v24, v110, v56
	v_fmac_f16_e32 v22, v8, v26
	v_mul_f16_e32 v26, v110, v28
	v_fma_f16 v8, v8, v53, -v23
	v_sub_f16_e32 v23, v15, v55
	v_sub_f16_e32 v7, v37, v7
	;; [unrolled: 1-line block ×8, first 2 shown]
	v_lshrrev_b32_e32 v57, 16, v30
	v_fmac_f16_e32 v24, v9, v28
	v_fma_f16 v9, v9, v56, -v26
	v_fma_f16 v15, v15, 2.0, -v23
	v_fma_f16 v26, v37, 2.0, -v7
	;; [unrolled: 1-line block ×8, first 2 shown]
	v_fma_f16 v3, v3, v52, -v27
	v_mul_f16_e32 v27, v107, v57
	v_sub_f16_e32 v28, v15, v28
	v_sub_f16_e32 v5, v26, v5
	v_add_f16_e32 v12, v23, v12
	v_add_f16_e32 v13, v19, v13
	v_sub_f16_e32 v38, v37, v38
	v_sub_f16_e32 v6, v4, v6
	v_fmac_f16_e32 v27, v10, v30
	v_fma_f16 v15, v15, 2.0, -v28
	v_fma_f16 v26, v26, 2.0, -v5
	v_sub_f16_e32 v17, v7, v17
	v_fma_f16 v23, v23, 2.0, -v12
	v_sub_f16_e32 v21, v11, v21
	v_fma_f16 v19, v19, 2.0, -v13
	v_fma_f16 v37, v37, 2.0, -v38
	;; [unrolled: 1-line block ×3, first 2 shown]
	v_mul_f16_e32 v30, v107, v30
	v_lshrrev_b32_e32 v46, 16, v16
	v_fma_f16 v7, v7, 2.0, -v17
	v_fma_f16 v11, v11, 2.0, -v21
	v_fmamk_f16 v39, v19, 0xb9a8, v23
	v_sub_f16_e32 v37, v15, v37
	v_sub_f16_e32 v4, v26, v4
	v_fma_f16 v10, v10, v57, -v30
	v_fmamk_f16 v40, v11, 0xb9a8, v7
	v_fmac_f16_e32 v39, 0x39a8, v11
	v_fma_f16 v11, v15, 2.0, -v37
	v_fma_f16 v15, v26, 2.0, -v4
	v_fmamk_f16 v26, v13, 0x39a8, v12
	v_fmamk_f16 v30, v21, 0x39a8, v17
	v_sub_f16_e32 v18, v16, v18
	v_sub_f16_e32 v3, v46, v3
	;; [unrolled: 1-line block ×5, first 2 shown]
	v_fmac_f16_e32 v26, 0x39a8, v21
	v_fmac_f16_e32 v30, 0xb9a8, v13
	v_fma_f16 v13, v16, 2.0, -v18
	v_sub_f16_e32 v16, v29, v24
	v_sub_f16_e32 v21, v25, v22
	v_fma_f16 v22, v46, 2.0, -v3
	v_fma_f16 v1, v1, 2.0, -v9
	v_sub_f16_e32 v27, v20, v27
	v_fma_f16 v0, v0, 2.0, -v8
	v_fma_f16 v2, v2, 2.0, -v10
	;; [unrolled: 1-line block ×4, first 2 shown]
	v_sub_f16_e32 v1, v22, v1
	v_fma_f16 v20, v20, 2.0, -v27
	v_add_f16_e32 v9, v18, v9
	v_sub_f16_e32 v16, v3, v16
	v_add_f16_e32 v10, v21, v10
	v_sub_f16_e32 v2, v0, v2
	v_sub_f16_e32 v27, v8, v27
	;; [unrolled: 1-line block ×3, first 2 shown]
	v_fma_f16 v22, v22, 2.0, -v1
	v_fma_f16 v18, v18, 2.0, -v9
	v_sub_f16_e32 v20, v25, v20
	v_fma_f16 v3, v3, 2.0, -v16
	v_fma_f16 v21, v21, 2.0, -v10
	;; [unrolled: 1-line block ×4, first 2 shown]
	v_fmac_f16_e32 v40, 0xb9a8, v19
	v_fma_f16 v19, v23, 2.0, -v39
	v_sub_f16_e32 v23, v5, v38
	v_fma_f16 v13, v13, 2.0, -v24
	v_fma_f16 v25, v25, 2.0, -v20
	v_fmamk_f16 v29, v21, 0xb9a8, v18
	v_sub_f16_e32 v0, v22, v0
	v_fmamk_f16 v38, v8, 0xb9a8, v3
	v_add_f16_e32 v6, v28, v6
	v_sub_f16_e32 v25, v13, v25
	v_fmac_f16_e32 v29, 0x39a8, v8
	v_fma_f16 v8, v22, 2.0, -v0
	v_fmac_f16_e32 v38, 0xb9a8, v21
	v_fmamk_f16 v21, v10, 0x39a8, v9
	v_fmamk_f16 v22, v27, 0x39a8, v16
	v_add_f16_e32 v2, v24, v2
	v_sub_f16_e32 v20, v1, v20
	v_fma_f16 v13, v13, 2.0, -v25
	v_fmac_f16_e32 v21, 0x39a8, v27
	v_fmac_f16_e32 v22, 0xb9a8, v10
	v_fma_f16 v7, v7, 2.0, -v40
	v_fma_f16 v18, v18, 2.0, -v29
	;; [unrolled: 1-line block ×11, first 2 shown]
	v_pack_b32_f16 v11, v11, v15
	v_pack_b32_f16 v8, v13, v8
	;; [unrolled: 1-line block ×7, first 2 shown]
	ds_store_2addr_b32 v50, v11, v8 offset1:102
	ds_store_2addr_b32 v14, v7, v3 offset0:76 offset1:178
	ds_store_2addr_b32 v31, v5, v1 offset0:152 offset1:254
	v_pack_b32_f16 v1, v9, v16
	v_pack_b32_f16 v4, v37, v4
	;; [unrolled: 1-line block ×9, first 2 shown]
	ds_store_2addr_b32 v32, v12, v1 offset0:100 offset1:202
	ds_store_2addr_b32 v33, v4, v0 offset0:48 offset1:150
	;; [unrolled: 1-line block ×5, first 2 shown]
	global_wb scope:SCOPE_SE
	s_wait_dscnt 0x0
	s_barrier_signal -1
	s_barrier_wait -1
	global_inv scope:SCOPE_SE
	s_and_b32 exec_lo, exec_lo, vcc_lo
	s_cbranch_execz .LBB0_23
; %bb.22:
	global_load_b32 v0, v44, s[12:13]
	ds_load_b32 v1, v50
	s_mov_b32 s8, 0x14141414
	s_mov_b32 s9, 0x3f441414
	v_mad_co_u64_u32 v[6:7], null, s4, v48, 0
	s_mul_u64 s[10:11], s[4:5], 0x300
	s_wait_dscnt 0x0
	v_lshrrev_b32_e32 v2, 16, v1
	s_wait_loadcnt 0x0
	v_lshrrev_b32_e32 v3, 16, v0
	s_delay_alu instid0(VALU_DEP_1) | instskip(SKIP_1) | instid1(VALU_DEP_2)
	v_mul_f16_e32 v4, v2, v3
	v_mul_f16_e32 v3, v1, v3
	v_fmac_f16_e32 v4, v1, v0
	s_delay_alu instid0(VALU_DEP_2) | instskip(NEXT) | instid1(VALU_DEP_2)
	v_fma_f16 v0, v0, v2, -v3
	v_cvt_f32_f16_e32 v1, v4
	s_delay_alu instid0(VALU_DEP_2) | instskip(SKIP_1) | instid1(VALU_DEP_3)
	v_cvt_f32_f16_e32 v2, v0
	v_mad_co_u64_u32 v[4:5], null, s6, v242, 0
	v_cvt_f64_f32_e32 v[0:1], v1
	s_delay_alu instid0(VALU_DEP_3) | instskip(SKIP_1) | instid1(VALU_DEP_2)
	v_cvt_f64_f32_e32 v[2:3], v2
	s_wait_alu 0xfffe
	v_mul_f64_e32 v[0:1], s[8:9], v[0:1]
	s_delay_alu instid0(VALU_DEP_2) | instskip(NEXT) | instid1(VALU_DEP_2)
	v_mul_f64_e32 v[2:3], s[8:9], v[2:3]
	v_and_or_b32 v0, 0x1ff, v1, v0
	s_delay_alu instid0(VALU_DEP_2)
	v_and_or_b32 v2, 0x1ff, v3, v2
	v_lshrrev_b32_e32 v8, 8, v1
	v_bfe_u32 v10, v1, 20, 11
	v_lshrrev_b32_e32 v9, 8, v3
	v_cmp_ne_u32_e32 vcc_lo, 0, v0
	v_bfe_u32 v11, v3, 20, 11
	v_mov_b32_e32 v0, v7
	v_sub_nc_u32_e32 v13, 0x3f1, v10
	v_add_nc_u32_e32 v10, 0xfffffc10, v10
	v_cndmask_b32_e64 v12, 0, 1, vcc_lo
	v_cmp_ne_u32_e32 vcc_lo, 0, v2
	v_sub_nc_u32_e32 v14, 0x3f1, v11
	v_med3_i32 v13, v13, 0, 13
	v_lshrrev_b32_e32 v3, 16, v3
	v_and_or_b32 v12, 0xffe, v8, v12
	s_wait_alu 0xfffd
	v_cndmask_b32_e64 v2, 0, 1, vcc_lo
	v_mad_co_u64_u32 v[7:8], null, s7, v242, v[5:6]
	v_med3_i32 v14, v14, 0, 13
	v_or_b32_e32 v15, 0x1000, v12
	s_delay_alu instid0(VALU_DEP_4) | instskip(SKIP_1) | instid1(VALU_DEP_4)
	v_and_or_b32 v2, 0xffe, v9, v2
	s_mul_u64 s[6:7], s[4:5], 0x180
	v_mov_b32_e32 v5, v7
	s_delay_alu instid0(VALU_DEP_2) | instskip(SKIP_3) | instid1(VALU_DEP_4)
	v_or_b32_e32 v16, 0x1000, v2
	v_mad_co_u64_u32 v[8:9], null, s5, v48, v[0:1]
	v_lshrrev_b32_e32 v0, v13, v15
	v_lshrrev_b32_e32 v1, 16, v1
	;; [unrolled: 1-line block ×3, first 2 shown]
	v_lshlrev_b64_e32 v[4:5], 2, v[4:5]
	s_delay_alu instid0(VALU_DEP_4) | instskip(NEXT) | instid1(VALU_DEP_3)
	v_lshlrev_b32_e32 v13, v13, v0
	v_dual_mov_b32 v7, v8 :: v_dual_lshlrev_b32 v8, v14, v9
	v_lshl_or_b32 v14, v10, 12, v12
	s_delay_alu instid0(VALU_DEP_3) | instskip(NEXT) | instid1(VALU_DEP_3)
	v_cmp_ne_u32_e32 vcc_lo, v13, v15
	v_lshlrev_b64_e32 v[6:7], 2, v[6:7]
	s_wait_alu 0xfffd
	v_cndmask_b32_e64 v13, 0, 1, vcc_lo
	v_cmp_ne_u32_e32 vcc_lo, v8, v16
	s_delay_alu instid0(VALU_DEP_2) | instskip(SKIP_4) | instid1(VALU_DEP_3)
	v_or_b32_e32 v0, v0, v13
	s_wait_alu 0xfffd
	v_cndmask_b32_e64 v8, 0, 1, vcc_lo
	v_cmp_gt_i32_e32 vcc_lo, 1, v10
	v_add_nc_u32_e32 v11, 0xfffffc10, v11
	v_or_b32_e32 v8, v9, v8
	s_wait_alu 0xfffd
	v_cndmask_b32_e32 v0, v14, v0, vcc_lo
	s_delay_alu instid0(VALU_DEP_3) | instskip(SKIP_2) | instid1(VALU_DEP_2)
	v_lshl_or_b32 v13, v11, 12, v2
	v_cmp_gt_i32_e32 vcc_lo, 1, v11
	s_wait_alu 0xfffd
	v_cndmask_b32_e32 v8, v13, v8, vcc_lo
	v_cmp_ne_u32_e32 vcc_lo, 0, v12
	v_and_b32_e32 v12, 7, v0
	v_lshrrev_b32_e32 v0, 2, v0
	s_wait_alu 0xfffd
	v_cndmask_b32_e64 v9, 0, 1, vcc_lo
	v_cmp_ne_u32_e32 vcc_lo, 0, v2
	v_cmp_eq_u32_e64 s0, 3, v12
	s_delay_alu instid0(VALU_DEP_3) | instskip(SKIP_3) | instid1(VALU_DEP_2)
	v_lshl_or_b32 v9, v9, 9, 0x7c00
	s_wait_alu 0xfffd
	v_cndmask_b32_e64 v2, 0, 1, vcc_lo
	v_cmp_lt_i32_e32 vcc_lo, 5, v12
	v_lshl_or_b32 v2, v2, 9, 0x7c00
	v_and_b32_e32 v13, 7, v8
	v_lshrrev_b32_e32 v8, 2, v8
	s_or_b32 vcc_lo, s0, vcc_lo
	s_wait_alu 0xfffe
	v_add_co_ci_u32_e32 v0, vcc_lo, 0, v0, vcc_lo
	v_cmp_lt_i32_e64 s1, 5, v13
	v_cmp_eq_u32_e64 s2, 3, v13
	s_delay_alu instid0(VALU_DEP_1)
	s_or_b32 vcc_lo, s2, s1
	s_wait_alu 0xfffe
	v_add_co_ci_u32_e32 v8, vcc_lo, 0, v8, vcc_lo
	v_cmp_gt_i32_e32 vcc_lo, 31, v10
	s_wait_alu 0xfffd
	v_cndmask_b32_e32 v0, 0x7c00, v0, vcc_lo
	v_cmp_gt_i32_e32 vcc_lo, 31, v11
	s_wait_alu 0xfffd
	v_cndmask_b32_e32 v8, 0x7c00, v8, vcc_lo
	v_cmp_eq_u32_e32 vcc_lo, 0x40f, v10
	s_wait_alu 0xfffd
	v_cndmask_b32_e32 v0, v0, v9, vcc_lo
	v_cmp_eq_u32_e32 vcc_lo, 0x40f, v11
	s_wait_alu 0xfffd
	v_cndmask_b32_e32 v2, v8, v2, vcc_lo
	s_delay_alu instid0(VALU_DEP_3)
	v_and_or_b32 v8, 0x8000, v1, v0
	v_add_co_u32 v0, vcc_lo, s14, v4
	s_wait_alu 0xfffd
	v_add_co_ci_u32_e32 v1, vcc_lo, s15, v5, vcc_lo
	v_and_or_b32 v4, 0x8000, v3, v2
	v_and_b32_e32 v5, 0xffff, v8
	v_add_co_u32 v2, vcc_lo, v0, v6
	s_wait_alu 0xfffd
	v_add_co_ci_u32_e32 v3, vcc_lo, v1, v7, vcc_lo
	s_delay_alu instid0(VALU_DEP_3)
	v_lshl_or_b32 v4, v4, 16, v5
	global_store_b32 v[2:3], v4, off
	global_load_b32 v6, v44, s[12:13] offset:384
	ds_load_2addr_b32 v[4:5], v44 offset0:96 offset1:192
	s_wait_dscnt 0x0
	v_lshrrev_b32_e32 v7, 16, v4
	s_wait_loadcnt 0x0
	v_lshrrev_b32_e32 v8, 16, v6
	s_delay_alu instid0(VALU_DEP_1) | instskip(SKIP_1) | instid1(VALU_DEP_2)
	v_mul_f16_e32 v9, v7, v8
	v_mul_f16_e32 v8, v4, v8
	v_fmac_f16_e32 v9, v4, v6
	s_delay_alu instid0(VALU_DEP_2) | instskip(NEXT) | instid1(VALU_DEP_2)
	v_fma_f16 v4, v6, v7, -v8
	v_cvt_f32_f16_e32 v6, v9
	s_delay_alu instid0(VALU_DEP_2) | instskip(NEXT) | instid1(VALU_DEP_2)
	v_cvt_f32_f16_e32 v4, v4
	v_cvt_f64_f32_e32 v[6:7], v6
	s_delay_alu instid0(VALU_DEP_2) | instskip(NEXT) | instid1(VALU_DEP_2)
	v_cvt_f64_f32_e32 v[8:9], v4
	v_mul_f64_e32 v[6:7], s[8:9], v[6:7]
	s_delay_alu instid0(VALU_DEP_2) | instskip(NEXT) | instid1(VALU_DEP_2)
	v_mul_f64_e32 v[8:9], s[8:9], v[8:9]
	v_and_or_b32 v4, 0x1ff, v7, v6
	s_delay_alu instid0(VALU_DEP_2)
	v_and_or_b32 v8, 0x1ff, v9, v8
	v_lshrrev_b32_e32 v6, 8, v7
	v_bfe_u32 v10, v7, 20, 11
	v_lshrrev_b32_e32 v11, 8, v9
	v_cmp_ne_u32_e32 vcc_lo, 0, v4
	v_bfe_u32 v12, v9, 20, 11
	v_lshrrev_b32_e32 v7, 16, v7
	v_sub_nc_u32_e32 v13, 0x3f1, v10
	v_add_nc_u32_e32 v10, 0xfffffc10, v10
	s_wait_alu 0xfffd
	v_cndmask_b32_e64 v4, 0, 1, vcc_lo
	v_cmp_ne_u32_e32 vcc_lo, 0, v8
	v_lshrrev_b32_e32 v9, 16, v9
	s_delay_alu instid0(VALU_DEP_3) | instskip(SKIP_4) | instid1(VALU_DEP_3)
	v_and_or_b32 v4, 0xffe, v6, v4
	s_wait_alu 0xfffd
	v_cndmask_b32_e64 v8, 0, 1, vcc_lo
	v_sub_nc_u32_e32 v6, 0x3f1, v12
	v_add_nc_u32_e32 v12, 0xfffffc10, v12
	v_and_or_b32 v8, 0xffe, v11, v8
	v_med3_i32 v11, v13, 0, 13
	v_or_b32_e32 v13, 0x1000, v4
	v_med3_i32 v6, v6, 0, 13
	s_delay_alu instid0(VALU_DEP_4) | instskip(NEXT) | instid1(VALU_DEP_3)
	v_or_b32_e32 v14, 0x1000, v8
	v_lshrrev_b32_e32 v15, v11, v13
	s_delay_alu instid0(VALU_DEP_2) | instskip(NEXT) | instid1(VALU_DEP_2)
	v_lshrrev_b32_e32 v16, v6, v14
	v_lshlrev_b32_e32 v11, v11, v15
	s_delay_alu instid0(VALU_DEP_2) | instskip(NEXT) | instid1(VALU_DEP_2)
	v_lshlrev_b32_e32 v6, v6, v16
	v_cmp_ne_u32_e32 vcc_lo, v11, v13
	v_lshl_or_b32 v13, v10, 12, v4
	s_wait_alu 0xfffd
	v_cndmask_b32_e64 v11, 0, 1, vcc_lo
	v_cmp_ne_u32_e32 vcc_lo, v6, v14
	v_lshl_or_b32 v14, v12, 12, v8
	s_delay_alu instid0(VALU_DEP_3) | instskip(SKIP_3) | instid1(VALU_DEP_2)
	v_or_b32_e32 v11, v15, v11
	s_wait_alu 0xfffd
	v_cndmask_b32_e64 v6, 0, 1, vcc_lo
	v_cmp_gt_i32_e32 vcc_lo, 1, v10
	v_or_b32_e32 v6, v16, v6
	s_wait_alu 0xfffd
	v_cndmask_b32_e32 v11, v13, v11, vcc_lo
	v_cmp_gt_i32_e32 vcc_lo, 1, v12
	s_wait_alu 0xfffd
	s_delay_alu instid0(VALU_DEP_2) | instskip(SKIP_2) | instid1(VALU_DEP_3)
	v_dual_cndmask_b32 v6, v14, v6 :: v_dual_and_b32 v13, 7, v11
	v_cmp_ne_u32_e32 vcc_lo, 0, v4
	v_lshrrev_b32_e32 v11, 2, v11
	v_cmp_eq_u32_e64 s0, 3, v13
	s_delay_alu instid0(VALU_DEP_4)
	v_and_b32_e32 v14, 7, v6
	s_wait_alu 0xfffd
	v_cndmask_b32_e64 v4, 0, 1, vcc_lo
	v_cmp_ne_u32_e32 vcc_lo, 0, v8
	v_lshrrev_b32_e32 v6, 2, v6
	v_cmp_lt_i32_e64 s1, 5, v14
	v_cmp_eq_u32_e64 s2, 3, v14
	s_wait_alu 0xfffd
	v_cndmask_b32_e64 v8, 0, 1, vcc_lo
	v_cmp_lt_i32_e32 vcc_lo, 5, v13
	v_lshl_or_b32 v4, v4, 9, 0x7c00
	s_delay_alu instid0(VALU_DEP_3)
	v_lshl_or_b32 v8, v8, 9, 0x7c00
	s_or_b32 vcc_lo, s0, vcc_lo
	s_wait_alu 0xfffe
	v_add_co_ci_u32_e32 v11, vcc_lo, 0, v11, vcc_lo
	s_or_b32 vcc_lo, s2, s1
	s_wait_alu 0xfffe
	v_add_co_ci_u32_e32 v6, vcc_lo, 0, v6, vcc_lo
	v_cmp_gt_i32_e32 vcc_lo, 31, v10
	s_wait_alu 0xfffd
	v_cndmask_b32_e32 v11, 0x7c00, v11, vcc_lo
	v_cmp_gt_i32_e32 vcc_lo, 31, v12
	s_wait_alu 0xfffd
	v_cndmask_b32_e32 v6, 0x7c00, v6, vcc_lo
	v_cmp_eq_u32_e32 vcc_lo, 0x40f, v10
	s_wait_alu 0xfffd
	v_cndmask_b32_e32 v4, v11, v4, vcc_lo
	v_cmp_eq_u32_e32 vcc_lo, 0x40f, v12
	s_delay_alu instid0(VALU_DEP_2)
	v_and_or_b32 v4, 0x8000, v7, v4
	s_wait_alu 0xfffd
	v_cndmask_b32_e32 v6, v6, v8, vcc_lo
	v_add_co_u32 v2, vcc_lo, v2, s6
	s_wait_alu 0xfffd
	v_add_co_ci_u32_e32 v3, vcc_lo, s7, v3, vcc_lo
	s_delay_alu instid0(VALU_DEP_3) | instskip(SKIP_1) | instid1(VALU_DEP_1)
	v_and_or_b32 v6, 0x8000, v9, v6
	v_and_b32_e32 v4, 0xffff, v4
	v_lshl_or_b32 v4, v6, 16, v4
	v_lshrrev_b32_e32 v6, 16, v5
	global_store_b32 v[2:3], v4, off
	global_load_b32 v4, v44, s[12:13] offset:768
	s_wait_loadcnt 0x0
	v_lshrrev_b32_e32 v7, 16, v4
	s_delay_alu instid0(VALU_DEP_1) | instskip(SKIP_1) | instid1(VALU_DEP_2)
	v_mul_f16_e32 v8, v6, v7
	v_mul_f16_e32 v7, v5, v7
	v_fmac_f16_e32 v8, v5, v4
	s_delay_alu instid0(VALU_DEP_2) | instskip(NEXT) | instid1(VALU_DEP_2)
	v_fma_f16 v4, v4, v6, -v7
	v_cvt_f32_f16_e32 v5, v8
	s_delay_alu instid0(VALU_DEP_2) | instskip(NEXT) | instid1(VALU_DEP_2)
	v_cvt_f32_f16_e32 v6, v4
	v_cvt_f64_f32_e32 v[4:5], v5
	s_delay_alu instid0(VALU_DEP_2) | instskip(NEXT) | instid1(VALU_DEP_2)
	v_cvt_f64_f32_e32 v[6:7], v6
	v_mul_f64_e32 v[4:5], s[8:9], v[4:5]
	s_delay_alu instid0(VALU_DEP_2) | instskip(NEXT) | instid1(VALU_DEP_2)
	v_mul_f64_e32 v[6:7], s[8:9], v[6:7]
	v_and_or_b32 v4, 0x1ff, v5, v4
	s_delay_alu instid0(VALU_DEP_2)
	v_and_or_b32 v6, 0x1ff, v7, v6
	v_lshrrev_b32_e32 v8, 8, v5
	v_bfe_u32 v9, v5, 20, 11
	v_lshrrev_b32_e32 v10, 8, v7
	v_cmp_ne_u32_e32 vcc_lo, 0, v4
	v_bfe_u32 v11, v7, 20, 11
	v_lshrrev_b32_e32 v5, 16, v5
	v_sub_nc_u32_e32 v12, 0x3f1, v9
	v_add_nc_u32_e32 v9, 0xfffffc10, v9
	s_wait_alu 0xfffd
	v_cndmask_b32_e64 v4, 0, 1, vcc_lo
	v_cmp_ne_u32_e32 vcc_lo, 0, v6
	v_lshrrev_b32_e32 v7, 16, v7
	s_delay_alu instid0(VALU_DEP_3) | instskip(SKIP_4) | instid1(VALU_DEP_3)
	v_and_or_b32 v4, 0xffe, v8, v4
	s_wait_alu 0xfffd
	v_cndmask_b32_e64 v6, 0, 1, vcc_lo
	v_sub_nc_u32_e32 v8, 0x3f1, v11
	v_add_nc_u32_e32 v11, 0xfffffc10, v11
	v_and_or_b32 v6, 0xffe, v10, v6
	v_med3_i32 v10, v12, 0, 13
	v_or_b32_e32 v12, 0x1000, v4
	v_med3_i32 v8, v8, 0, 13
	s_delay_alu instid0(VALU_DEP_4) | instskip(NEXT) | instid1(VALU_DEP_3)
	v_or_b32_e32 v13, 0x1000, v6
	v_lshrrev_b32_e32 v14, v10, v12
	s_delay_alu instid0(VALU_DEP_2) | instskip(NEXT) | instid1(VALU_DEP_2)
	v_lshrrev_b32_e32 v15, v8, v13
	v_lshlrev_b32_e32 v10, v10, v14
	s_delay_alu instid0(VALU_DEP_2) | instskip(NEXT) | instid1(VALU_DEP_2)
	v_lshlrev_b32_e32 v8, v8, v15
	v_cmp_ne_u32_e32 vcc_lo, v10, v12
	v_lshl_or_b32 v12, v9, 12, v4
	s_wait_alu 0xfffd
	v_cndmask_b32_e64 v10, 0, 1, vcc_lo
	v_cmp_ne_u32_e32 vcc_lo, v8, v13
	v_lshl_or_b32 v13, v11, 12, v6
	s_delay_alu instid0(VALU_DEP_3) | instskip(SKIP_3) | instid1(VALU_DEP_2)
	v_or_b32_e32 v10, v14, v10
	s_wait_alu 0xfffd
	v_cndmask_b32_e64 v8, 0, 1, vcc_lo
	v_cmp_gt_i32_e32 vcc_lo, 1, v9
	v_or_b32_e32 v8, v15, v8
	s_wait_alu 0xfffd
	v_cndmask_b32_e32 v10, v12, v10, vcc_lo
	v_cmp_gt_i32_e32 vcc_lo, 1, v11
	s_delay_alu instid0(VALU_DEP_2)
	v_and_b32_e32 v12, 7, v10
	s_wait_alu 0xfffd
	v_cndmask_b32_e32 v8, v13, v8, vcc_lo
	v_cmp_ne_u32_e32 vcc_lo, 0, v4
	v_lshrrev_b32_e32 v10, 2, v10
	v_cmp_eq_u32_e64 s0, 3, v12
	s_delay_alu instid0(VALU_DEP_4)
	v_and_b32_e32 v13, 7, v8
	s_wait_alu 0xfffd
	v_cndmask_b32_e64 v4, 0, 1, vcc_lo
	v_cmp_ne_u32_e32 vcc_lo, 0, v6
	v_lshrrev_b32_e32 v8, 2, v8
	v_cmp_lt_i32_e64 s1, 5, v13
	v_cmp_eq_u32_e64 s2, 3, v13
	s_wait_alu 0xfffd
	v_cndmask_b32_e64 v6, 0, 1, vcc_lo
	v_cmp_lt_i32_e32 vcc_lo, 5, v12
	v_lshl_or_b32 v4, v4, 9, 0x7c00
	s_delay_alu instid0(VALU_DEP_3)
	v_lshl_or_b32 v6, v6, 9, 0x7c00
	s_or_b32 vcc_lo, s0, vcc_lo
	s_wait_alu 0xfffe
	v_add_co_ci_u32_e32 v10, vcc_lo, 0, v10, vcc_lo
	s_or_b32 vcc_lo, s2, s1
	s_wait_alu 0xfffe
	v_add_co_ci_u32_e32 v8, vcc_lo, 0, v8, vcc_lo
	v_cmp_gt_i32_e32 vcc_lo, 31, v9
	s_wait_alu 0xfffd
	v_cndmask_b32_e32 v10, 0x7c00, v10, vcc_lo
	v_cmp_gt_i32_e32 vcc_lo, 31, v11
	s_wait_alu 0xfffd
	v_cndmask_b32_e32 v8, 0x7c00, v8, vcc_lo
	v_cmp_eq_u32_e32 vcc_lo, 0x40f, v9
	s_wait_alu 0xfffd
	v_cndmask_b32_e32 v4, v10, v4, vcc_lo
	v_cmp_eq_u32_e32 vcc_lo, 0x40f, v11
	s_delay_alu instid0(VALU_DEP_2)
	v_and_or_b32 v4, 0x8000, v5, v4
	s_wait_alu 0xfffd
	v_cndmask_b32_e32 v6, v8, v6, vcc_lo
	v_add_co_u32 v2, vcc_lo, v2, s6
	s_wait_alu 0xfffd
	v_add_co_ci_u32_e32 v3, vcc_lo, s7, v3, vcc_lo
	s_delay_alu instid0(VALU_DEP_3) | instskip(SKIP_1) | instid1(VALU_DEP_1)
	v_and_or_b32 v5, 0x8000, v7, v6
	v_and_b32_e32 v4, 0xffff, v4
	v_lshl_or_b32 v4, v5, 16, v4
	global_store_b32 v[2:3], v4, off
	global_load_b32 v6, v44, s[12:13] offset:1152
	v_add_nc_u32_e32 v4, 0x400, v44
	ds_load_2addr_b32 v[4:5], v4 offset0:32 offset1:128
	s_wait_dscnt 0x0
	v_lshrrev_b32_e32 v7, 16, v4
	s_wait_loadcnt 0x0
	v_lshrrev_b32_e32 v8, 16, v6
	s_delay_alu instid0(VALU_DEP_1) | instskip(SKIP_1) | instid1(VALU_DEP_2)
	v_mul_f16_e32 v9, v7, v8
	v_mul_f16_e32 v8, v4, v8
	v_fmac_f16_e32 v9, v4, v6
	s_delay_alu instid0(VALU_DEP_2) | instskip(NEXT) | instid1(VALU_DEP_2)
	v_fma_f16 v4, v6, v7, -v8
	v_cvt_f32_f16_e32 v6, v9
	s_delay_alu instid0(VALU_DEP_2) | instskip(NEXT) | instid1(VALU_DEP_2)
	v_cvt_f32_f16_e32 v4, v4
	v_cvt_f64_f32_e32 v[6:7], v6
	s_delay_alu instid0(VALU_DEP_2) | instskip(NEXT) | instid1(VALU_DEP_2)
	v_cvt_f64_f32_e32 v[8:9], v4
	v_mul_f64_e32 v[6:7], s[8:9], v[6:7]
	s_delay_alu instid0(VALU_DEP_2) | instskip(NEXT) | instid1(VALU_DEP_2)
	v_mul_f64_e32 v[8:9], s[8:9], v[8:9]
	v_and_or_b32 v4, 0x1ff, v7, v6
	s_delay_alu instid0(VALU_DEP_2)
	v_and_or_b32 v8, 0x1ff, v9, v8
	v_lshrrev_b32_e32 v6, 8, v7
	v_bfe_u32 v10, v7, 20, 11
	v_lshrrev_b32_e32 v11, 8, v9
	v_cmp_ne_u32_e32 vcc_lo, 0, v4
	v_bfe_u32 v12, v9, 20, 11
	v_lshrrev_b32_e32 v7, 16, v7
	v_sub_nc_u32_e32 v13, 0x3f1, v10
	v_add_nc_u32_e32 v10, 0xfffffc10, v10
	s_wait_alu 0xfffd
	v_cndmask_b32_e64 v4, 0, 1, vcc_lo
	v_cmp_ne_u32_e32 vcc_lo, 0, v8
	v_lshrrev_b32_e32 v9, 16, v9
	s_delay_alu instid0(VALU_DEP_3) | instskip(SKIP_4) | instid1(VALU_DEP_3)
	v_and_or_b32 v4, 0xffe, v6, v4
	s_wait_alu 0xfffd
	v_cndmask_b32_e64 v8, 0, 1, vcc_lo
	v_sub_nc_u32_e32 v6, 0x3f1, v12
	v_add_nc_u32_e32 v12, 0xfffffc10, v12
	v_and_or_b32 v8, 0xffe, v11, v8
	v_med3_i32 v11, v13, 0, 13
	v_or_b32_e32 v13, 0x1000, v4
	v_med3_i32 v6, v6, 0, 13
	s_delay_alu instid0(VALU_DEP_4) | instskip(NEXT) | instid1(VALU_DEP_3)
	v_or_b32_e32 v14, 0x1000, v8
	v_lshrrev_b32_e32 v15, v11, v13
	s_delay_alu instid0(VALU_DEP_2) | instskip(NEXT) | instid1(VALU_DEP_2)
	v_lshrrev_b32_e32 v16, v6, v14
	v_lshlrev_b32_e32 v11, v11, v15
	s_delay_alu instid0(VALU_DEP_2) | instskip(NEXT) | instid1(VALU_DEP_2)
	v_lshlrev_b32_e32 v6, v6, v16
	v_cmp_ne_u32_e32 vcc_lo, v11, v13
	v_lshl_or_b32 v13, v10, 12, v4
	s_wait_alu 0xfffd
	v_cndmask_b32_e64 v11, 0, 1, vcc_lo
	v_cmp_ne_u32_e32 vcc_lo, v6, v14
	v_lshl_or_b32 v14, v12, 12, v8
	s_delay_alu instid0(VALU_DEP_3) | instskip(SKIP_3) | instid1(VALU_DEP_2)
	v_or_b32_e32 v11, v15, v11
	s_wait_alu 0xfffd
	v_cndmask_b32_e64 v6, 0, 1, vcc_lo
	v_cmp_gt_i32_e32 vcc_lo, 1, v10
	v_or_b32_e32 v6, v16, v6
	s_wait_alu 0xfffd
	v_cndmask_b32_e32 v11, v13, v11, vcc_lo
	v_cmp_gt_i32_e32 vcc_lo, 1, v12
	s_wait_alu 0xfffd
	s_delay_alu instid0(VALU_DEP_2) | instskip(SKIP_2) | instid1(VALU_DEP_3)
	v_dual_cndmask_b32 v6, v14, v6 :: v_dual_and_b32 v13, 7, v11
	v_cmp_ne_u32_e32 vcc_lo, 0, v4
	v_lshrrev_b32_e32 v11, 2, v11
	v_cmp_eq_u32_e64 s0, 3, v13
	s_delay_alu instid0(VALU_DEP_4)
	v_and_b32_e32 v14, 7, v6
	s_wait_alu 0xfffd
	v_cndmask_b32_e64 v4, 0, 1, vcc_lo
	v_cmp_ne_u32_e32 vcc_lo, 0, v8
	v_lshrrev_b32_e32 v6, 2, v6
	v_cmp_lt_i32_e64 s1, 5, v14
	v_cmp_eq_u32_e64 s2, 3, v14
	s_wait_alu 0xfffd
	v_cndmask_b32_e64 v8, 0, 1, vcc_lo
	v_cmp_lt_i32_e32 vcc_lo, 5, v13
	v_lshl_or_b32 v4, v4, 9, 0x7c00
	s_delay_alu instid0(VALU_DEP_3)
	v_lshl_or_b32 v8, v8, 9, 0x7c00
	s_or_b32 vcc_lo, s0, vcc_lo
	s_wait_alu 0xfffe
	v_add_co_ci_u32_e32 v11, vcc_lo, 0, v11, vcc_lo
	s_or_b32 vcc_lo, s2, s1
	s_wait_alu 0xfffe
	v_add_co_ci_u32_e32 v6, vcc_lo, 0, v6, vcc_lo
	v_cmp_gt_i32_e32 vcc_lo, 31, v10
	s_wait_alu 0xfffd
	v_cndmask_b32_e32 v11, 0x7c00, v11, vcc_lo
	v_cmp_gt_i32_e32 vcc_lo, 31, v12
	s_wait_alu 0xfffd
	v_cndmask_b32_e32 v6, 0x7c00, v6, vcc_lo
	v_cmp_eq_u32_e32 vcc_lo, 0x40f, v10
	s_wait_alu 0xfffd
	v_cndmask_b32_e32 v4, v11, v4, vcc_lo
	v_cmp_eq_u32_e32 vcc_lo, 0x40f, v12
	s_delay_alu instid0(VALU_DEP_2)
	v_and_or_b32 v4, 0x8000, v7, v4
	s_wait_alu 0xfffd
	v_cndmask_b32_e32 v6, v6, v8, vcc_lo
	v_add_co_u32 v2, vcc_lo, v2, s6
	s_wait_alu 0xfffd
	v_add_co_ci_u32_e32 v3, vcc_lo, s7, v3, vcc_lo
	s_delay_alu instid0(VALU_DEP_3) | instskip(SKIP_1) | instid1(VALU_DEP_1)
	v_and_or_b32 v6, 0x8000, v9, v6
	v_and_b32_e32 v4, 0xffff, v4
	v_lshl_or_b32 v4, v6, 16, v4
	v_lshrrev_b32_e32 v6, 16, v5
	global_store_b32 v[2:3], v4, off
	global_load_b32 v4, v44, s[12:13] offset:1536
	s_wait_loadcnt 0x0
	v_lshrrev_b32_e32 v7, 16, v4
	s_delay_alu instid0(VALU_DEP_1) | instskip(SKIP_1) | instid1(VALU_DEP_2)
	v_mul_f16_e32 v8, v6, v7
	v_mul_f16_e32 v7, v5, v7
	v_fmac_f16_e32 v8, v5, v4
	s_delay_alu instid0(VALU_DEP_2) | instskip(NEXT) | instid1(VALU_DEP_2)
	v_fma_f16 v4, v4, v6, -v7
	v_cvt_f32_f16_e32 v5, v8
	s_delay_alu instid0(VALU_DEP_2) | instskip(NEXT) | instid1(VALU_DEP_2)
	v_cvt_f32_f16_e32 v6, v4
	v_cvt_f64_f32_e32 v[4:5], v5
	s_delay_alu instid0(VALU_DEP_2) | instskip(NEXT) | instid1(VALU_DEP_2)
	v_cvt_f64_f32_e32 v[6:7], v6
	v_mul_f64_e32 v[4:5], s[8:9], v[4:5]
	s_delay_alu instid0(VALU_DEP_2) | instskip(NEXT) | instid1(VALU_DEP_2)
	v_mul_f64_e32 v[6:7], s[8:9], v[6:7]
	v_and_or_b32 v4, 0x1ff, v5, v4
	s_delay_alu instid0(VALU_DEP_2)
	v_and_or_b32 v6, 0x1ff, v7, v6
	v_lshrrev_b32_e32 v8, 8, v5
	v_bfe_u32 v10, v5, 20, 11
	v_bfe_u32 v11, v7, 20, 11
	v_cmp_ne_u32_e32 vcc_lo, 0, v4
	v_lshrrev_b32_e32 v9, 8, v7
	v_lshrrev_b32_e32 v7, 16, v7
	v_sub_nc_u32_e32 v12, 0x3f1, v10
	v_sub_nc_u32_e32 v13, 0x3f1, v11
	s_wait_alu 0xfffd
	v_cndmask_b32_e64 v4, 0, 1, vcc_lo
	v_cmp_ne_u32_e32 vcc_lo, 0, v6
	v_add_nc_u32_e32 v11, 0xfffffc10, v11
	s_delay_alu instid0(VALU_DEP_3)
	v_and_or_b32 v14, 0xffe, v8, v4
	s_wait_alu 0xfffd
	v_cndmask_b32_e64 v6, 0, 1, vcc_lo
	v_med3_i32 v4, v12, 0, 13
	v_med3_i32 v12, v13, 0, 13
	v_or_b32_e32 v13, 0x1000, v14
	s_delay_alu instid0(VALU_DEP_4) | instskip(SKIP_1) | instid1(VALU_DEP_3)
	v_and_or_b32 v6, 0xffe, v9, v6
	v_mad_co_u64_u32 v[8:9], null, s4, v241, 0
	v_lshrrev_b32_e32 v16, v4, v13
	s_delay_alu instid0(VALU_DEP_3) | instskip(NEXT) | instid1(VALU_DEP_2)
	v_or_b32_e32 v15, 0x1000, v6
	v_lshlrev_b32_e32 v18, v4, v16
	s_delay_alu instid0(VALU_DEP_2) | instskip(SKIP_1) | instid1(VALU_DEP_3)
	v_lshrrev_b32_e32 v17, v12, v15
	v_mov_b32_e32 v4, v9
	v_cmp_ne_u32_e32 vcc_lo, v18, v13
	s_delay_alu instid0(VALU_DEP_3) | instskip(SKIP_3) | instid1(VALU_DEP_3)
	v_lshlrev_b32_e32 v9, v12, v17
	v_add_nc_u32_e32 v12, 0xfffffc10, v10
	s_wait_alu 0xfffd
	v_cndmask_b32_e64 v13, 0, 1, vcc_lo
	v_cmp_ne_u32_e32 vcc_lo, v9, v15
	v_mad_co_u64_u32 v[9:10], null, s5, v241, v[4:5]
	v_lshl_or_b32 v4, v12, 12, v14
	s_delay_alu instid0(VALU_DEP_4)
	v_or_b32_e32 v10, v16, v13
	s_wait_alu 0xfffd
	v_cndmask_b32_e64 v15, 0, 1, vcc_lo
	v_cmp_gt_i32_e32 vcc_lo, 1, v12
	v_lshl_or_b32 v13, v11, 12, v6
	v_lshrrev_b32_e32 v5, 16, v5
	s_delay_alu instid0(VALU_DEP_4)
	v_or_b32_e32 v15, v17, v15
	s_wait_alu 0xfffd
	v_cndmask_b32_e32 v4, v4, v10, vcc_lo
	v_cmp_gt_i32_e32 vcc_lo, 1, v11
	s_wait_alu 0xfffd
	v_cndmask_b32_e32 v10, v13, v15, vcc_lo
	v_cmp_ne_u32_e32 vcc_lo, 0, v14
	v_and_b32_e32 v14, 7, v4
	v_lshrrev_b32_e32 v4, 2, v4
	s_delay_alu instid0(VALU_DEP_4)
	v_and_b32_e32 v15, 7, v10
	s_wait_alu 0xfffd
	v_cndmask_b32_e64 v13, 0, 1, vcc_lo
	v_cmp_ne_u32_e32 vcc_lo, 0, v6
	v_cmp_eq_u32_e64 s0, 3, v14
	v_lshrrev_b32_e32 v10, 2, v10
	v_cmp_lt_i32_e64 s1, 5, v15
	v_cmp_eq_u32_e64 s2, 3, v15
	s_wait_alu 0xfffd
	v_cndmask_b32_e64 v6, 0, 1, vcc_lo
	v_cmp_lt_i32_e32 vcc_lo, 5, v14
	v_lshl_or_b32 v13, v13, 9, 0x7c00
	s_delay_alu instid0(VALU_DEP_3)
	v_lshl_or_b32 v6, v6, 9, 0x7c00
	s_or_b32 vcc_lo, s0, vcc_lo
	s_wait_alu 0xfffe
	v_add_co_ci_u32_e32 v4, vcc_lo, 0, v4, vcc_lo
	s_or_b32 vcc_lo, s2, s1
	s_wait_alu 0xfffe
	v_add_co_ci_u32_e32 v10, vcc_lo, 0, v10, vcc_lo
	v_cmp_gt_i32_e32 vcc_lo, 31, v12
	s_wait_alu 0xfffd
	v_cndmask_b32_e32 v4, 0x7c00, v4, vcc_lo
	v_cmp_gt_i32_e32 vcc_lo, 31, v11
	s_wait_alu 0xfffd
	v_cndmask_b32_e32 v10, 0x7c00, v10, vcc_lo
	v_cmp_eq_u32_e32 vcc_lo, 0x40f, v12
	s_wait_alu 0xfffd
	v_cndmask_b32_e32 v4, v4, v13, vcc_lo
	v_cmp_eq_u32_e32 vcc_lo, 0x40f, v11
	s_wait_alu 0xfffd
	v_cndmask_b32_e32 v6, v10, v6, vcc_lo
	s_delay_alu instid0(VALU_DEP_3) | instskip(SKIP_1) | instid1(VALU_DEP_3)
	v_and_or_b32 v10, 0x8000, v5, v4
	v_lshlrev_b64_e32 v[4:5], 2, v[8:9]
	v_and_or_b32 v6, 0x8000, v7, v6
	s_delay_alu instid0(VALU_DEP_3) | instskip(NEXT) | instid1(VALU_DEP_3)
	v_and_b32_e32 v7, 0xffff, v10
	v_add_co_u32 v4, vcc_lo, v0, v4
	s_wait_alu 0xfffd
	s_delay_alu instid0(VALU_DEP_4) | instskip(NEXT) | instid1(VALU_DEP_3)
	v_add_co_ci_u32_e32 v5, vcc_lo, v1, v5, vcc_lo
	v_lshl_or_b32 v6, v6, 16, v7
	global_store_b32 v[4:5], v6, off
	global_load_b32 v6, v44, s[12:13] offset:1920
	v_add_nc_u32_e32 v4, 0x600, v44
	ds_load_2addr_b32 v[4:5], v4 offset0:96 offset1:192
	s_wait_dscnt 0x0
	v_lshrrev_b32_e32 v7, 16, v4
	s_wait_loadcnt 0x0
	v_lshrrev_b32_e32 v8, 16, v6
	s_delay_alu instid0(VALU_DEP_1) | instskip(SKIP_1) | instid1(VALU_DEP_2)
	v_mul_f16_e32 v9, v7, v8
	v_mul_f16_e32 v8, v4, v8
	v_fmac_f16_e32 v9, v4, v6
	s_delay_alu instid0(VALU_DEP_2) | instskip(NEXT) | instid1(VALU_DEP_2)
	v_fma_f16 v4, v6, v7, -v8
	v_cvt_f32_f16_e32 v6, v9
	s_delay_alu instid0(VALU_DEP_2) | instskip(NEXT) | instid1(VALU_DEP_2)
	v_cvt_f32_f16_e32 v4, v4
	v_cvt_f64_f32_e32 v[6:7], v6
	s_delay_alu instid0(VALU_DEP_2) | instskip(NEXT) | instid1(VALU_DEP_2)
	v_cvt_f64_f32_e32 v[8:9], v4
	v_mul_f64_e32 v[6:7], s[8:9], v[6:7]
	s_delay_alu instid0(VALU_DEP_2) | instskip(NEXT) | instid1(VALU_DEP_2)
	v_mul_f64_e32 v[8:9], s[8:9], v[8:9]
	v_and_or_b32 v4, 0x1ff, v7, v6
	s_delay_alu instid0(VALU_DEP_2)
	v_and_or_b32 v8, 0x1ff, v9, v8
	v_lshrrev_b32_e32 v6, 8, v7
	v_bfe_u32 v10, v7, 20, 11
	v_lshrrev_b32_e32 v11, 8, v9
	v_cmp_ne_u32_e32 vcc_lo, 0, v4
	v_bfe_u32 v12, v9, 20, 11
	v_lshrrev_b32_e32 v7, 16, v7
	v_sub_nc_u32_e32 v13, 0x3f1, v10
	v_add_nc_u32_e32 v10, 0xfffffc10, v10
	s_wait_alu 0xfffd
	v_cndmask_b32_e64 v4, 0, 1, vcc_lo
	v_cmp_ne_u32_e32 vcc_lo, 0, v8
	v_lshrrev_b32_e32 v9, 16, v9
	s_delay_alu instid0(VALU_DEP_3) | instskip(SKIP_4) | instid1(VALU_DEP_3)
	v_and_or_b32 v4, 0xffe, v6, v4
	s_wait_alu 0xfffd
	v_cndmask_b32_e64 v8, 0, 1, vcc_lo
	v_sub_nc_u32_e32 v6, 0x3f1, v12
	v_add_nc_u32_e32 v12, 0xfffffc10, v12
	v_and_or_b32 v8, 0xffe, v11, v8
	v_med3_i32 v11, v13, 0, 13
	v_or_b32_e32 v13, 0x1000, v4
	v_med3_i32 v6, v6, 0, 13
	s_delay_alu instid0(VALU_DEP_4) | instskip(NEXT) | instid1(VALU_DEP_3)
	v_or_b32_e32 v14, 0x1000, v8
	v_lshrrev_b32_e32 v15, v11, v13
	s_delay_alu instid0(VALU_DEP_2) | instskip(NEXT) | instid1(VALU_DEP_2)
	v_lshrrev_b32_e32 v16, v6, v14
	v_lshlrev_b32_e32 v11, v11, v15
	s_delay_alu instid0(VALU_DEP_2) | instskip(NEXT) | instid1(VALU_DEP_2)
	v_lshlrev_b32_e32 v6, v6, v16
	v_cmp_ne_u32_e32 vcc_lo, v11, v13
	v_lshl_or_b32 v13, v10, 12, v4
	s_wait_alu 0xfffd
	v_cndmask_b32_e64 v11, 0, 1, vcc_lo
	v_cmp_ne_u32_e32 vcc_lo, v6, v14
	v_lshl_or_b32 v14, v12, 12, v8
	s_delay_alu instid0(VALU_DEP_3) | instskip(SKIP_3) | instid1(VALU_DEP_2)
	v_or_b32_e32 v11, v15, v11
	s_wait_alu 0xfffd
	v_cndmask_b32_e64 v6, 0, 1, vcc_lo
	v_cmp_gt_i32_e32 vcc_lo, 1, v10
	v_or_b32_e32 v6, v16, v6
	s_wait_alu 0xfffd
	v_cndmask_b32_e32 v11, v13, v11, vcc_lo
	v_cmp_gt_i32_e32 vcc_lo, 1, v12
	s_wait_alu 0xfffd
	s_delay_alu instid0(VALU_DEP_2) | instskip(SKIP_2) | instid1(VALU_DEP_3)
	v_dual_cndmask_b32 v6, v14, v6 :: v_dual_and_b32 v13, 7, v11
	v_cmp_ne_u32_e32 vcc_lo, 0, v4
	v_lshrrev_b32_e32 v11, 2, v11
	v_cmp_eq_u32_e64 s0, 3, v13
	s_delay_alu instid0(VALU_DEP_4)
	v_and_b32_e32 v14, 7, v6
	s_wait_alu 0xfffd
	v_cndmask_b32_e64 v4, 0, 1, vcc_lo
	v_cmp_ne_u32_e32 vcc_lo, 0, v8
	v_lshrrev_b32_e32 v6, 2, v6
	v_cmp_lt_i32_e64 s1, 5, v14
	v_cmp_eq_u32_e64 s2, 3, v14
	s_wait_alu 0xfffd
	v_cndmask_b32_e64 v8, 0, 1, vcc_lo
	v_cmp_lt_i32_e32 vcc_lo, 5, v13
	v_lshl_or_b32 v4, v4, 9, 0x7c00
	s_delay_alu instid0(VALU_DEP_3)
	v_lshl_or_b32 v8, v8, 9, 0x7c00
	s_or_b32 vcc_lo, s0, vcc_lo
	s_wait_alu 0xfffe
	v_add_co_ci_u32_e32 v11, vcc_lo, 0, v11, vcc_lo
	s_or_b32 vcc_lo, s2, s1
	s_wait_alu 0xfffe
	v_add_co_ci_u32_e32 v6, vcc_lo, 0, v6, vcc_lo
	v_cmp_gt_i32_e32 vcc_lo, 31, v10
	s_wait_alu 0xfffd
	v_cndmask_b32_e32 v11, 0x7c00, v11, vcc_lo
	v_cmp_gt_i32_e32 vcc_lo, 31, v12
	s_wait_alu 0xfffd
	v_cndmask_b32_e32 v6, 0x7c00, v6, vcc_lo
	v_cmp_eq_u32_e32 vcc_lo, 0x40f, v10
	s_wait_alu 0xfffd
	v_cndmask_b32_e32 v4, v11, v4, vcc_lo
	v_cmp_eq_u32_e32 vcc_lo, 0x40f, v12
	s_delay_alu instid0(VALU_DEP_2)
	v_and_or_b32 v4, 0x8000, v7, v4
	s_wait_alu 0xfffd
	v_cndmask_b32_e32 v6, v6, v8, vcc_lo
	v_add_co_u32 v2, vcc_lo, v2, s10
	s_wait_alu 0xfffd
	v_add_co_ci_u32_e32 v3, vcc_lo, s11, v3, vcc_lo
	s_delay_alu instid0(VALU_DEP_3) | instskip(SKIP_1) | instid1(VALU_DEP_1)
	v_and_or_b32 v6, 0x8000, v9, v6
	v_and_b32_e32 v4, 0xffff, v4
	v_lshl_or_b32 v4, v6, 16, v4
	v_lshrrev_b32_e32 v6, 16, v5
	global_store_b32 v[2:3], v4, off
	global_load_b32 v4, v44, s[12:13] offset:2304
	s_wait_loadcnt 0x0
	v_lshrrev_b32_e32 v7, 16, v4
	s_delay_alu instid0(VALU_DEP_1) | instskip(SKIP_1) | instid1(VALU_DEP_2)
	v_mul_f16_e32 v8, v6, v7
	v_mul_f16_e32 v7, v5, v7
	v_fmac_f16_e32 v8, v5, v4
	s_delay_alu instid0(VALU_DEP_2) | instskip(NEXT) | instid1(VALU_DEP_2)
	v_fma_f16 v4, v4, v6, -v7
	v_cvt_f32_f16_e32 v5, v8
	s_delay_alu instid0(VALU_DEP_2) | instskip(NEXT) | instid1(VALU_DEP_2)
	v_cvt_f32_f16_e32 v6, v4
	v_cvt_f64_f32_e32 v[4:5], v5
	s_delay_alu instid0(VALU_DEP_2) | instskip(NEXT) | instid1(VALU_DEP_2)
	v_cvt_f64_f32_e32 v[6:7], v6
	v_mul_f64_e32 v[4:5], s[8:9], v[4:5]
	s_delay_alu instid0(VALU_DEP_2) | instskip(NEXT) | instid1(VALU_DEP_2)
	v_mul_f64_e32 v[6:7], s[8:9], v[6:7]
	v_and_or_b32 v4, 0x1ff, v5, v4
	s_delay_alu instid0(VALU_DEP_2)
	v_and_or_b32 v6, 0x1ff, v7, v6
	v_lshrrev_b32_e32 v8, 8, v5
	v_bfe_u32 v9, v5, 20, 11
	v_lshrrev_b32_e32 v10, 8, v7
	v_cmp_ne_u32_e32 vcc_lo, 0, v4
	v_bfe_u32 v11, v7, 20, 11
	v_lshrrev_b32_e32 v5, 16, v5
	v_sub_nc_u32_e32 v12, 0x3f1, v9
	v_add_nc_u32_e32 v9, 0xfffffc10, v9
	s_wait_alu 0xfffd
	v_cndmask_b32_e64 v4, 0, 1, vcc_lo
	v_cmp_ne_u32_e32 vcc_lo, 0, v6
	v_lshrrev_b32_e32 v7, 16, v7
	s_delay_alu instid0(VALU_DEP_3) | instskip(SKIP_4) | instid1(VALU_DEP_3)
	v_and_or_b32 v4, 0xffe, v8, v4
	s_wait_alu 0xfffd
	v_cndmask_b32_e64 v6, 0, 1, vcc_lo
	v_sub_nc_u32_e32 v8, 0x3f1, v11
	v_add_nc_u32_e32 v11, 0xfffffc10, v11
	v_and_or_b32 v6, 0xffe, v10, v6
	v_med3_i32 v10, v12, 0, 13
	v_or_b32_e32 v12, 0x1000, v4
	v_med3_i32 v8, v8, 0, 13
	s_delay_alu instid0(VALU_DEP_4) | instskip(NEXT) | instid1(VALU_DEP_3)
	v_or_b32_e32 v13, 0x1000, v6
	v_lshrrev_b32_e32 v14, v10, v12
	s_delay_alu instid0(VALU_DEP_2) | instskip(NEXT) | instid1(VALU_DEP_2)
	v_lshrrev_b32_e32 v15, v8, v13
	v_lshlrev_b32_e32 v10, v10, v14
	s_delay_alu instid0(VALU_DEP_2) | instskip(NEXT) | instid1(VALU_DEP_2)
	v_lshlrev_b32_e32 v8, v8, v15
	v_cmp_ne_u32_e32 vcc_lo, v10, v12
	v_lshl_or_b32 v12, v9, 12, v4
	s_wait_alu 0xfffd
	v_cndmask_b32_e64 v10, 0, 1, vcc_lo
	v_cmp_ne_u32_e32 vcc_lo, v8, v13
	v_lshl_or_b32 v13, v11, 12, v6
	s_delay_alu instid0(VALU_DEP_3) | instskip(SKIP_3) | instid1(VALU_DEP_2)
	v_or_b32_e32 v10, v14, v10
	s_wait_alu 0xfffd
	v_cndmask_b32_e64 v8, 0, 1, vcc_lo
	v_cmp_gt_i32_e32 vcc_lo, 1, v9
	v_or_b32_e32 v8, v15, v8
	s_wait_alu 0xfffd
	v_cndmask_b32_e32 v10, v12, v10, vcc_lo
	v_cmp_gt_i32_e32 vcc_lo, 1, v11
	s_delay_alu instid0(VALU_DEP_2)
	v_and_b32_e32 v12, 7, v10
	s_wait_alu 0xfffd
	v_cndmask_b32_e32 v8, v13, v8, vcc_lo
	v_cmp_ne_u32_e32 vcc_lo, 0, v4
	v_lshrrev_b32_e32 v10, 2, v10
	v_cmp_eq_u32_e64 s0, 3, v12
	s_delay_alu instid0(VALU_DEP_4)
	v_and_b32_e32 v13, 7, v8
	s_wait_alu 0xfffd
	v_cndmask_b32_e64 v4, 0, 1, vcc_lo
	v_cmp_ne_u32_e32 vcc_lo, 0, v6
	v_lshrrev_b32_e32 v8, 2, v8
	v_cmp_lt_i32_e64 s1, 5, v13
	v_cmp_eq_u32_e64 s2, 3, v13
	s_wait_alu 0xfffd
	v_cndmask_b32_e64 v6, 0, 1, vcc_lo
	v_cmp_lt_i32_e32 vcc_lo, 5, v12
	v_lshl_or_b32 v4, v4, 9, 0x7c00
	s_delay_alu instid0(VALU_DEP_3)
	v_lshl_or_b32 v6, v6, 9, 0x7c00
	s_or_b32 vcc_lo, s0, vcc_lo
	s_wait_alu 0xfffe
	v_add_co_ci_u32_e32 v10, vcc_lo, 0, v10, vcc_lo
	s_or_b32 vcc_lo, s2, s1
	s_wait_alu 0xfffe
	v_add_co_ci_u32_e32 v8, vcc_lo, 0, v8, vcc_lo
	v_cmp_gt_i32_e32 vcc_lo, 31, v9
	s_wait_alu 0xfffd
	v_cndmask_b32_e32 v10, 0x7c00, v10, vcc_lo
	v_cmp_gt_i32_e32 vcc_lo, 31, v11
	s_wait_alu 0xfffd
	v_cndmask_b32_e32 v8, 0x7c00, v8, vcc_lo
	v_cmp_eq_u32_e32 vcc_lo, 0x40f, v9
	s_wait_alu 0xfffd
	v_cndmask_b32_e32 v4, v10, v4, vcc_lo
	v_cmp_eq_u32_e32 vcc_lo, 0x40f, v11
	s_delay_alu instid0(VALU_DEP_2)
	v_and_or_b32 v4, 0x8000, v5, v4
	s_wait_alu 0xfffd
	v_cndmask_b32_e32 v6, v8, v6, vcc_lo
	v_add_co_u32 v2, vcc_lo, v2, s6
	s_wait_alu 0xfffd
	v_add_co_ci_u32_e32 v3, vcc_lo, s7, v3, vcc_lo
	s_delay_alu instid0(VALU_DEP_3) | instskip(SKIP_1) | instid1(VALU_DEP_1)
	v_and_or_b32 v5, 0x8000, v7, v6
	v_and_b32_e32 v4, 0xffff, v4
	v_lshl_or_b32 v4, v5, 16, v4
	global_store_b32 v[2:3], v4, off
	global_load_b32 v6, v44, s[12:13] offset:2688
	v_add_nc_u32_e32 v4, 0xa00, v44
	ds_load_2addr_b32 v[4:5], v4 offset0:32 offset1:128
	s_wait_dscnt 0x0
	v_lshrrev_b32_e32 v7, 16, v4
	s_wait_loadcnt 0x0
	v_lshrrev_b32_e32 v8, 16, v6
	s_delay_alu instid0(VALU_DEP_1) | instskip(SKIP_1) | instid1(VALU_DEP_2)
	v_mul_f16_e32 v9, v7, v8
	v_mul_f16_e32 v8, v4, v8
	v_fmac_f16_e32 v9, v4, v6
	s_delay_alu instid0(VALU_DEP_2) | instskip(NEXT) | instid1(VALU_DEP_2)
	v_fma_f16 v4, v6, v7, -v8
	v_cvt_f32_f16_e32 v6, v9
	s_delay_alu instid0(VALU_DEP_2) | instskip(NEXT) | instid1(VALU_DEP_2)
	v_cvt_f32_f16_e32 v4, v4
	v_cvt_f64_f32_e32 v[6:7], v6
	s_delay_alu instid0(VALU_DEP_2) | instskip(NEXT) | instid1(VALU_DEP_2)
	v_cvt_f64_f32_e32 v[8:9], v4
	v_mul_f64_e32 v[6:7], s[8:9], v[6:7]
	s_delay_alu instid0(VALU_DEP_2) | instskip(NEXT) | instid1(VALU_DEP_2)
	v_mul_f64_e32 v[8:9], s[8:9], v[8:9]
	v_and_or_b32 v4, 0x1ff, v7, v6
	s_delay_alu instid0(VALU_DEP_2)
	v_and_or_b32 v8, 0x1ff, v9, v8
	v_lshrrev_b32_e32 v6, 8, v7
	v_bfe_u32 v10, v7, 20, 11
	v_lshrrev_b32_e32 v11, 8, v9
	v_cmp_ne_u32_e32 vcc_lo, 0, v4
	v_bfe_u32 v12, v9, 20, 11
	v_lshrrev_b32_e32 v7, 16, v7
	v_sub_nc_u32_e32 v13, 0x3f1, v10
	v_add_nc_u32_e32 v10, 0xfffffc10, v10
	s_wait_alu 0xfffd
	v_cndmask_b32_e64 v4, 0, 1, vcc_lo
	v_cmp_ne_u32_e32 vcc_lo, 0, v8
	v_lshrrev_b32_e32 v9, 16, v9
	s_delay_alu instid0(VALU_DEP_3) | instskip(SKIP_4) | instid1(VALU_DEP_3)
	v_and_or_b32 v4, 0xffe, v6, v4
	s_wait_alu 0xfffd
	v_cndmask_b32_e64 v8, 0, 1, vcc_lo
	v_sub_nc_u32_e32 v6, 0x3f1, v12
	v_add_nc_u32_e32 v12, 0xfffffc10, v12
	v_and_or_b32 v8, 0xffe, v11, v8
	v_med3_i32 v11, v13, 0, 13
	v_or_b32_e32 v13, 0x1000, v4
	v_med3_i32 v6, v6, 0, 13
	s_delay_alu instid0(VALU_DEP_4) | instskip(NEXT) | instid1(VALU_DEP_3)
	v_or_b32_e32 v14, 0x1000, v8
	v_lshrrev_b32_e32 v15, v11, v13
	s_delay_alu instid0(VALU_DEP_2) | instskip(NEXT) | instid1(VALU_DEP_2)
	v_lshrrev_b32_e32 v16, v6, v14
	v_lshlrev_b32_e32 v11, v11, v15
	s_delay_alu instid0(VALU_DEP_2) | instskip(NEXT) | instid1(VALU_DEP_2)
	v_lshlrev_b32_e32 v6, v6, v16
	v_cmp_ne_u32_e32 vcc_lo, v11, v13
	v_lshl_or_b32 v13, v10, 12, v4
	s_wait_alu 0xfffd
	v_cndmask_b32_e64 v11, 0, 1, vcc_lo
	v_cmp_ne_u32_e32 vcc_lo, v6, v14
	v_lshl_or_b32 v14, v12, 12, v8
	s_delay_alu instid0(VALU_DEP_3) | instskip(SKIP_3) | instid1(VALU_DEP_2)
	v_or_b32_e32 v11, v15, v11
	s_wait_alu 0xfffd
	v_cndmask_b32_e64 v6, 0, 1, vcc_lo
	v_cmp_gt_i32_e32 vcc_lo, 1, v10
	v_or_b32_e32 v6, v16, v6
	s_wait_alu 0xfffd
	v_cndmask_b32_e32 v11, v13, v11, vcc_lo
	v_cmp_gt_i32_e32 vcc_lo, 1, v12
	s_wait_alu 0xfffd
	s_delay_alu instid0(VALU_DEP_2) | instskip(SKIP_2) | instid1(VALU_DEP_3)
	v_dual_cndmask_b32 v6, v14, v6 :: v_dual_and_b32 v13, 7, v11
	v_cmp_ne_u32_e32 vcc_lo, 0, v4
	v_lshrrev_b32_e32 v11, 2, v11
	v_cmp_eq_u32_e64 s0, 3, v13
	s_delay_alu instid0(VALU_DEP_4)
	v_and_b32_e32 v14, 7, v6
	s_wait_alu 0xfffd
	v_cndmask_b32_e64 v4, 0, 1, vcc_lo
	v_cmp_ne_u32_e32 vcc_lo, 0, v8
	v_lshrrev_b32_e32 v6, 2, v6
	v_cmp_lt_i32_e64 s1, 5, v14
	v_cmp_eq_u32_e64 s2, 3, v14
	s_wait_alu 0xfffd
	v_cndmask_b32_e64 v8, 0, 1, vcc_lo
	v_cmp_lt_i32_e32 vcc_lo, 5, v13
	v_lshl_or_b32 v4, v4, 9, 0x7c00
	s_delay_alu instid0(VALU_DEP_3)
	v_lshl_or_b32 v8, v8, 9, 0x7c00
	s_or_b32 vcc_lo, s0, vcc_lo
	s_wait_alu 0xfffe
	v_add_co_ci_u32_e32 v11, vcc_lo, 0, v11, vcc_lo
	s_or_b32 vcc_lo, s2, s1
	s_wait_alu 0xfffe
	v_add_co_ci_u32_e32 v6, vcc_lo, 0, v6, vcc_lo
	v_cmp_gt_i32_e32 vcc_lo, 31, v10
	s_wait_alu 0xfffd
	v_cndmask_b32_e32 v11, 0x7c00, v11, vcc_lo
	v_cmp_gt_i32_e32 vcc_lo, 31, v12
	s_wait_alu 0xfffd
	v_cndmask_b32_e32 v6, 0x7c00, v6, vcc_lo
	v_cmp_eq_u32_e32 vcc_lo, 0x40f, v10
	s_wait_alu 0xfffd
	v_cndmask_b32_e32 v4, v11, v4, vcc_lo
	v_cmp_eq_u32_e32 vcc_lo, 0x40f, v12
	s_delay_alu instid0(VALU_DEP_2)
	v_and_or_b32 v4, 0x8000, v7, v4
	s_wait_alu 0xfffd
	v_cndmask_b32_e32 v6, v6, v8, vcc_lo
	v_add_co_u32 v2, vcc_lo, v2, s6
	s_wait_alu 0xfffd
	v_add_co_ci_u32_e32 v3, vcc_lo, s7, v3, vcc_lo
	s_delay_alu instid0(VALU_DEP_3) | instskip(SKIP_1) | instid1(VALU_DEP_1)
	v_and_or_b32 v6, 0x8000, v9, v6
	v_and_b32_e32 v4, 0xffff, v4
	v_lshl_or_b32 v4, v6, 16, v4
	v_lshrrev_b32_e32 v6, 16, v5
	global_store_b32 v[2:3], v4, off
	global_load_b32 v4, v44, s[12:13] offset:3072
	s_wait_loadcnt 0x0
	v_lshrrev_b32_e32 v7, 16, v4
	s_delay_alu instid0(VALU_DEP_1) | instskip(SKIP_1) | instid1(VALU_DEP_2)
	v_mul_f16_e32 v8, v6, v7
	v_mul_f16_e32 v7, v5, v7
	v_fmac_f16_e32 v8, v5, v4
	s_delay_alu instid0(VALU_DEP_2) | instskip(NEXT) | instid1(VALU_DEP_2)
	v_fma_f16 v4, v4, v6, -v7
	v_cvt_f32_f16_e32 v5, v8
	s_delay_alu instid0(VALU_DEP_2) | instskip(NEXT) | instid1(VALU_DEP_2)
	v_cvt_f32_f16_e32 v6, v4
	v_cvt_f64_f32_e32 v[4:5], v5
	s_delay_alu instid0(VALU_DEP_2) | instskip(NEXT) | instid1(VALU_DEP_2)
	v_cvt_f64_f32_e32 v[6:7], v6
	v_mul_f64_e32 v[4:5], s[8:9], v[4:5]
	s_delay_alu instid0(VALU_DEP_2) | instskip(NEXT) | instid1(VALU_DEP_2)
	v_mul_f64_e32 v[6:7], s[8:9], v[6:7]
	v_and_or_b32 v4, 0x1ff, v5, v4
	s_delay_alu instid0(VALU_DEP_2)
	v_and_or_b32 v6, 0x1ff, v7, v6
	v_lshrrev_b32_e32 v8, 8, v5
	v_bfe_u32 v10, v5, 20, 11
	v_bfe_u32 v11, v7, 20, 11
	v_cmp_ne_u32_e32 vcc_lo, 0, v4
	v_lshrrev_b32_e32 v9, 8, v7
	v_lshrrev_b32_e32 v7, 16, v7
	v_sub_nc_u32_e32 v12, 0x3f1, v10
	v_sub_nc_u32_e32 v13, 0x3f1, v11
	s_wait_alu 0xfffd
	v_cndmask_b32_e64 v4, 0, 1, vcc_lo
	v_cmp_ne_u32_e32 vcc_lo, 0, v6
	v_add_nc_u32_e32 v11, 0xfffffc10, v11
	s_delay_alu instid0(VALU_DEP_3)
	v_and_or_b32 v14, 0xffe, v8, v4
	s_wait_alu 0xfffd
	v_cndmask_b32_e64 v6, 0, 1, vcc_lo
	v_med3_i32 v4, v12, 0, 13
	v_med3_i32 v12, v13, 0, 13
	v_or_b32_e32 v13, 0x1000, v14
	s_delay_alu instid0(VALU_DEP_4) | instskip(SKIP_1) | instid1(VALU_DEP_3)
	v_and_or_b32 v6, 0xffe, v9, v6
	v_mad_co_u64_u32 v[8:9], null, s4, v240, 0
	v_lshrrev_b32_e32 v16, v4, v13
	s_delay_alu instid0(VALU_DEP_3) | instskip(NEXT) | instid1(VALU_DEP_2)
	v_or_b32_e32 v15, 0x1000, v6
	v_lshlrev_b32_e32 v18, v4, v16
	s_delay_alu instid0(VALU_DEP_2) | instskip(SKIP_1) | instid1(VALU_DEP_3)
	v_lshrrev_b32_e32 v17, v12, v15
	v_mov_b32_e32 v4, v9
	v_cmp_ne_u32_e32 vcc_lo, v18, v13
	s_delay_alu instid0(VALU_DEP_3) | instskip(SKIP_3) | instid1(VALU_DEP_3)
	v_lshlrev_b32_e32 v9, v12, v17
	v_add_nc_u32_e32 v12, 0xfffffc10, v10
	s_wait_alu 0xfffd
	v_cndmask_b32_e64 v13, 0, 1, vcc_lo
	v_cmp_ne_u32_e32 vcc_lo, v9, v15
	v_mad_co_u64_u32 v[9:10], null, s5, v240, v[4:5]
	v_lshl_or_b32 v4, v12, 12, v14
	s_delay_alu instid0(VALU_DEP_4)
	v_or_b32_e32 v10, v16, v13
	s_wait_alu 0xfffd
	v_cndmask_b32_e64 v15, 0, 1, vcc_lo
	v_cmp_gt_i32_e32 vcc_lo, 1, v12
	v_lshl_or_b32 v13, v11, 12, v6
	v_lshrrev_b32_e32 v5, 16, v5
	s_delay_alu instid0(VALU_DEP_4)
	v_or_b32_e32 v15, v17, v15
	s_wait_alu 0xfffd
	v_cndmask_b32_e32 v4, v4, v10, vcc_lo
	v_cmp_gt_i32_e32 vcc_lo, 1, v11
	s_wait_alu 0xfffd
	v_cndmask_b32_e32 v10, v13, v15, vcc_lo
	v_cmp_ne_u32_e32 vcc_lo, 0, v14
	v_and_b32_e32 v14, 7, v4
	v_lshrrev_b32_e32 v4, 2, v4
	s_delay_alu instid0(VALU_DEP_4)
	v_and_b32_e32 v15, 7, v10
	s_wait_alu 0xfffd
	v_cndmask_b32_e64 v13, 0, 1, vcc_lo
	v_cmp_ne_u32_e32 vcc_lo, 0, v6
	v_cmp_eq_u32_e64 s0, 3, v14
	v_lshrrev_b32_e32 v10, 2, v10
	v_cmp_lt_i32_e64 s1, 5, v15
	v_cmp_eq_u32_e64 s2, 3, v15
	s_wait_alu 0xfffd
	v_cndmask_b32_e64 v6, 0, 1, vcc_lo
	v_cmp_lt_i32_e32 vcc_lo, 5, v14
	v_lshl_or_b32 v13, v13, 9, 0x7c00
	s_delay_alu instid0(VALU_DEP_3)
	v_lshl_or_b32 v6, v6, 9, 0x7c00
	s_or_b32 vcc_lo, s0, vcc_lo
	s_wait_alu 0xfffe
	v_add_co_ci_u32_e32 v4, vcc_lo, 0, v4, vcc_lo
	s_or_b32 vcc_lo, s2, s1
	s_wait_alu 0xfffe
	v_add_co_ci_u32_e32 v10, vcc_lo, 0, v10, vcc_lo
	v_cmp_gt_i32_e32 vcc_lo, 31, v12
	s_wait_alu 0xfffd
	v_cndmask_b32_e32 v4, 0x7c00, v4, vcc_lo
	v_cmp_gt_i32_e32 vcc_lo, 31, v11
	s_wait_alu 0xfffd
	v_cndmask_b32_e32 v10, 0x7c00, v10, vcc_lo
	v_cmp_eq_u32_e32 vcc_lo, 0x40f, v12
	s_wait_alu 0xfffd
	v_cndmask_b32_e32 v4, v4, v13, vcc_lo
	v_cmp_eq_u32_e32 vcc_lo, 0x40f, v11
	s_wait_alu 0xfffd
	v_cndmask_b32_e32 v6, v10, v6, vcc_lo
	s_delay_alu instid0(VALU_DEP_3) | instskip(SKIP_1) | instid1(VALU_DEP_3)
	v_and_or_b32 v10, 0x8000, v5, v4
	v_lshlrev_b64_e32 v[4:5], 2, v[8:9]
	v_and_or_b32 v6, 0x8000, v7, v6
	s_delay_alu instid0(VALU_DEP_3) | instskip(NEXT) | instid1(VALU_DEP_3)
	v_and_b32_e32 v7, 0xffff, v10
	v_add_co_u32 v4, vcc_lo, v0, v4
	s_wait_alu 0xfffd
	s_delay_alu instid0(VALU_DEP_4) | instskip(NEXT) | instid1(VALU_DEP_3)
	v_add_co_ci_u32_e32 v5, vcc_lo, v1, v5, vcc_lo
	v_lshl_or_b32 v6, v6, 16, v7
	global_store_b32 v[4:5], v6, off
	global_load_b32 v6, v44, s[12:13] offset:3456
	v_add_nc_u32_e32 v4, 0xc00, v44
	ds_load_2addr_b32 v[4:5], v4 offset0:96 offset1:192
	s_wait_dscnt 0x0
	v_lshrrev_b32_e32 v7, 16, v4
	s_wait_loadcnt 0x0
	v_lshrrev_b32_e32 v8, 16, v6
	s_delay_alu instid0(VALU_DEP_1) | instskip(SKIP_1) | instid1(VALU_DEP_2)
	v_mul_f16_e32 v9, v7, v8
	v_mul_f16_e32 v8, v4, v8
	v_fmac_f16_e32 v9, v4, v6
	s_delay_alu instid0(VALU_DEP_2) | instskip(NEXT) | instid1(VALU_DEP_2)
	v_fma_f16 v4, v6, v7, -v8
	v_cvt_f32_f16_e32 v6, v9
	s_delay_alu instid0(VALU_DEP_2) | instskip(NEXT) | instid1(VALU_DEP_2)
	v_cvt_f32_f16_e32 v4, v4
	v_cvt_f64_f32_e32 v[6:7], v6
	s_delay_alu instid0(VALU_DEP_2) | instskip(NEXT) | instid1(VALU_DEP_2)
	v_cvt_f64_f32_e32 v[8:9], v4
	v_mul_f64_e32 v[6:7], s[8:9], v[6:7]
	s_delay_alu instid0(VALU_DEP_2) | instskip(NEXT) | instid1(VALU_DEP_2)
	v_mul_f64_e32 v[8:9], s[8:9], v[8:9]
	v_and_or_b32 v4, 0x1ff, v7, v6
	s_delay_alu instid0(VALU_DEP_2)
	v_and_or_b32 v8, 0x1ff, v9, v8
	v_lshrrev_b32_e32 v6, 8, v7
	v_bfe_u32 v10, v7, 20, 11
	v_lshrrev_b32_e32 v11, 8, v9
	v_cmp_ne_u32_e32 vcc_lo, 0, v4
	v_bfe_u32 v12, v9, 20, 11
	v_lshrrev_b32_e32 v7, 16, v7
	v_sub_nc_u32_e32 v13, 0x3f1, v10
	v_add_nc_u32_e32 v10, 0xfffffc10, v10
	s_wait_alu 0xfffd
	v_cndmask_b32_e64 v4, 0, 1, vcc_lo
	v_cmp_ne_u32_e32 vcc_lo, 0, v8
	v_lshrrev_b32_e32 v9, 16, v9
	s_delay_alu instid0(VALU_DEP_3) | instskip(SKIP_4) | instid1(VALU_DEP_3)
	v_and_or_b32 v4, 0xffe, v6, v4
	s_wait_alu 0xfffd
	v_cndmask_b32_e64 v8, 0, 1, vcc_lo
	v_sub_nc_u32_e32 v6, 0x3f1, v12
	v_add_nc_u32_e32 v12, 0xfffffc10, v12
	v_and_or_b32 v8, 0xffe, v11, v8
	v_med3_i32 v11, v13, 0, 13
	v_or_b32_e32 v13, 0x1000, v4
	v_med3_i32 v6, v6, 0, 13
	s_delay_alu instid0(VALU_DEP_4) | instskip(NEXT) | instid1(VALU_DEP_3)
	v_or_b32_e32 v14, 0x1000, v8
	v_lshrrev_b32_e32 v15, v11, v13
	s_delay_alu instid0(VALU_DEP_2) | instskip(NEXT) | instid1(VALU_DEP_2)
	v_lshrrev_b32_e32 v16, v6, v14
	v_lshlrev_b32_e32 v11, v11, v15
	s_delay_alu instid0(VALU_DEP_2) | instskip(NEXT) | instid1(VALU_DEP_2)
	v_lshlrev_b32_e32 v6, v6, v16
	v_cmp_ne_u32_e32 vcc_lo, v11, v13
	v_lshl_or_b32 v13, v10, 12, v4
	s_wait_alu 0xfffd
	v_cndmask_b32_e64 v11, 0, 1, vcc_lo
	v_cmp_ne_u32_e32 vcc_lo, v6, v14
	v_lshl_or_b32 v14, v12, 12, v8
	s_delay_alu instid0(VALU_DEP_3) | instskip(SKIP_3) | instid1(VALU_DEP_2)
	v_or_b32_e32 v11, v15, v11
	s_wait_alu 0xfffd
	v_cndmask_b32_e64 v6, 0, 1, vcc_lo
	v_cmp_gt_i32_e32 vcc_lo, 1, v10
	v_or_b32_e32 v6, v16, v6
	s_wait_alu 0xfffd
	v_cndmask_b32_e32 v11, v13, v11, vcc_lo
	v_cmp_gt_i32_e32 vcc_lo, 1, v12
	s_wait_alu 0xfffd
	s_delay_alu instid0(VALU_DEP_2) | instskip(SKIP_2) | instid1(VALU_DEP_3)
	v_dual_cndmask_b32 v6, v14, v6 :: v_dual_and_b32 v13, 7, v11
	v_cmp_ne_u32_e32 vcc_lo, 0, v4
	v_lshrrev_b32_e32 v11, 2, v11
	v_cmp_eq_u32_e64 s0, 3, v13
	s_delay_alu instid0(VALU_DEP_4)
	v_and_b32_e32 v14, 7, v6
	s_wait_alu 0xfffd
	v_cndmask_b32_e64 v4, 0, 1, vcc_lo
	v_cmp_ne_u32_e32 vcc_lo, 0, v8
	v_lshrrev_b32_e32 v6, 2, v6
	v_cmp_lt_i32_e64 s1, 5, v14
	v_cmp_eq_u32_e64 s2, 3, v14
	s_wait_alu 0xfffd
	v_cndmask_b32_e64 v8, 0, 1, vcc_lo
	v_cmp_lt_i32_e32 vcc_lo, 5, v13
	v_lshl_or_b32 v4, v4, 9, 0x7c00
	s_delay_alu instid0(VALU_DEP_3)
	v_lshl_or_b32 v8, v8, 9, 0x7c00
	s_or_b32 vcc_lo, s0, vcc_lo
	s_wait_alu 0xfffe
	v_add_co_ci_u32_e32 v11, vcc_lo, 0, v11, vcc_lo
	s_or_b32 vcc_lo, s2, s1
	s_wait_alu 0xfffe
	v_add_co_ci_u32_e32 v6, vcc_lo, 0, v6, vcc_lo
	v_cmp_gt_i32_e32 vcc_lo, 31, v10
	s_wait_alu 0xfffd
	v_cndmask_b32_e32 v11, 0x7c00, v11, vcc_lo
	v_cmp_gt_i32_e32 vcc_lo, 31, v12
	s_wait_alu 0xfffd
	v_cndmask_b32_e32 v6, 0x7c00, v6, vcc_lo
	v_cmp_eq_u32_e32 vcc_lo, 0x40f, v10
	s_wait_alu 0xfffd
	v_cndmask_b32_e32 v4, v11, v4, vcc_lo
	v_cmp_eq_u32_e32 vcc_lo, 0x40f, v12
	s_delay_alu instid0(VALU_DEP_2)
	v_and_or_b32 v4, 0x8000, v7, v4
	s_wait_alu 0xfffd
	v_cndmask_b32_e32 v6, v6, v8, vcc_lo
	v_add_co_u32 v2, vcc_lo, v2, s10
	s_wait_alu 0xfffd
	v_add_co_ci_u32_e32 v3, vcc_lo, s11, v3, vcc_lo
	s_delay_alu instid0(VALU_DEP_3) | instskip(SKIP_1) | instid1(VALU_DEP_1)
	v_and_or_b32 v6, 0x8000, v9, v6
	v_and_b32_e32 v4, 0xffff, v4
	v_lshl_or_b32 v4, v6, 16, v4
	v_lshrrev_b32_e32 v6, 16, v5
	global_store_b32 v[2:3], v4, off
	global_load_b32 v4, v44, s[12:13] offset:3840
	s_wait_loadcnt 0x0
	v_lshrrev_b32_e32 v7, 16, v4
	s_delay_alu instid0(VALU_DEP_1) | instskip(SKIP_1) | instid1(VALU_DEP_2)
	v_mul_f16_e32 v8, v6, v7
	v_mul_f16_e32 v7, v5, v7
	v_fmac_f16_e32 v8, v5, v4
	s_delay_alu instid0(VALU_DEP_2) | instskip(NEXT) | instid1(VALU_DEP_2)
	v_fma_f16 v4, v4, v6, -v7
	v_cvt_f32_f16_e32 v5, v8
	s_delay_alu instid0(VALU_DEP_2) | instskip(NEXT) | instid1(VALU_DEP_2)
	v_cvt_f32_f16_e32 v6, v4
	v_cvt_f64_f32_e32 v[4:5], v5
	s_delay_alu instid0(VALU_DEP_2) | instskip(NEXT) | instid1(VALU_DEP_2)
	v_cvt_f64_f32_e32 v[6:7], v6
	v_mul_f64_e32 v[4:5], s[8:9], v[4:5]
	s_delay_alu instid0(VALU_DEP_2) | instskip(NEXT) | instid1(VALU_DEP_2)
	v_mul_f64_e32 v[6:7], s[8:9], v[6:7]
	v_and_or_b32 v4, 0x1ff, v5, v4
	s_delay_alu instid0(VALU_DEP_2)
	v_and_or_b32 v6, 0x1ff, v7, v6
	v_lshrrev_b32_e32 v8, 8, v5
	v_bfe_u32 v9, v5, 20, 11
	v_lshrrev_b32_e32 v10, 8, v7
	v_cmp_ne_u32_e32 vcc_lo, 0, v4
	v_bfe_u32 v11, v7, 20, 11
	v_lshrrev_b32_e32 v5, 16, v5
	v_sub_nc_u32_e32 v12, 0x3f1, v9
	v_add_nc_u32_e32 v9, 0xfffffc10, v9
	s_wait_alu 0xfffd
	v_cndmask_b32_e64 v4, 0, 1, vcc_lo
	v_cmp_ne_u32_e32 vcc_lo, 0, v6
	v_lshrrev_b32_e32 v7, 16, v7
	s_delay_alu instid0(VALU_DEP_3) | instskip(SKIP_4) | instid1(VALU_DEP_3)
	v_and_or_b32 v4, 0xffe, v8, v4
	s_wait_alu 0xfffd
	v_cndmask_b32_e64 v6, 0, 1, vcc_lo
	v_sub_nc_u32_e32 v8, 0x3f1, v11
	v_add_nc_u32_e32 v11, 0xfffffc10, v11
	v_and_or_b32 v6, 0xffe, v10, v6
	v_med3_i32 v10, v12, 0, 13
	v_or_b32_e32 v12, 0x1000, v4
	v_med3_i32 v8, v8, 0, 13
	s_delay_alu instid0(VALU_DEP_4) | instskip(NEXT) | instid1(VALU_DEP_3)
	v_or_b32_e32 v13, 0x1000, v6
	v_lshrrev_b32_e32 v14, v10, v12
	s_delay_alu instid0(VALU_DEP_2) | instskip(NEXT) | instid1(VALU_DEP_2)
	v_lshrrev_b32_e32 v15, v8, v13
	v_lshlrev_b32_e32 v10, v10, v14
	s_delay_alu instid0(VALU_DEP_2) | instskip(NEXT) | instid1(VALU_DEP_2)
	v_lshlrev_b32_e32 v8, v8, v15
	v_cmp_ne_u32_e32 vcc_lo, v10, v12
	v_lshl_or_b32 v12, v9, 12, v4
	s_wait_alu 0xfffd
	v_cndmask_b32_e64 v10, 0, 1, vcc_lo
	v_cmp_ne_u32_e32 vcc_lo, v8, v13
	v_lshl_or_b32 v13, v11, 12, v6
	s_delay_alu instid0(VALU_DEP_3) | instskip(SKIP_3) | instid1(VALU_DEP_2)
	v_or_b32_e32 v10, v14, v10
	s_wait_alu 0xfffd
	v_cndmask_b32_e64 v8, 0, 1, vcc_lo
	v_cmp_gt_i32_e32 vcc_lo, 1, v9
	v_or_b32_e32 v8, v15, v8
	s_wait_alu 0xfffd
	v_cndmask_b32_e32 v10, v12, v10, vcc_lo
	v_cmp_gt_i32_e32 vcc_lo, 1, v11
	s_delay_alu instid0(VALU_DEP_2)
	v_and_b32_e32 v12, 7, v10
	s_wait_alu 0xfffd
	v_cndmask_b32_e32 v8, v13, v8, vcc_lo
	v_cmp_ne_u32_e32 vcc_lo, 0, v4
	v_lshrrev_b32_e32 v10, 2, v10
	v_cmp_eq_u32_e64 s0, 3, v12
	s_delay_alu instid0(VALU_DEP_4)
	v_and_b32_e32 v13, 7, v8
	s_wait_alu 0xfffd
	v_cndmask_b32_e64 v4, 0, 1, vcc_lo
	v_cmp_ne_u32_e32 vcc_lo, 0, v6
	v_lshrrev_b32_e32 v8, 2, v8
	v_cmp_lt_i32_e64 s1, 5, v13
	v_cmp_eq_u32_e64 s2, 3, v13
	s_wait_alu 0xfffd
	v_cndmask_b32_e64 v6, 0, 1, vcc_lo
	v_cmp_lt_i32_e32 vcc_lo, 5, v12
	v_lshl_or_b32 v4, v4, 9, 0x7c00
	s_delay_alu instid0(VALU_DEP_3)
	v_lshl_or_b32 v6, v6, 9, 0x7c00
	s_or_b32 vcc_lo, s0, vcc_lo
	s_wait_alu 0xfffe
	v_add_co_ci_u32_e32 v10, vcc_lo, 0, v10, vcc_lo
	s_or_b32 vcc_lo, s2, s1
	s_wait_alu 0xfffe
	v_add_co_ci_u32_e32 v8, vcc_lo, 0, v8, vcc_lo
	v_cmp_gt_i32_e32 vcc_lo, 31, v9
	s_wait_alu 0xfffd
	v_cndmask_b32_e32 v10, 0x7c00, v10, vcc_lo
	v_cmp_gt_i32_e32 vcc_lo, 31, v11
	s_wait_alu 0xfffd
	v_cndmask_b32_e32 v8, 0x7c00, v8, vcc_lo
	v_cmp_eq_u32_e32 vcc_lo, 0x40f, v9
	s_wait_alu 0xfffd
	v_cndmask_b32_e32 v4, v10, v4, vcc_lo
	v_cmp_eq_u32_e32 vcc_lo, 0x40f, v11
	s_delay_alu instid0(VALU_DEP_2)
	v_and_or_b32 v4, 0x8000, v5, v4
	s_wait_alu 0xfffd
	v_cndmask_b32_e32 v6, v8, v6, vcc_lo
	v_add_co_u32 v2, vcc_lo, v2, s6
	s_wait_alu 0xfffd
	v_add_co_ci_u32_e32 v3, vcc_lo, s7, v3, vcc_lo
	s_delay_alu instid0(VALU_DEP_3) | instskip(SKIP_1) | instid1(VALU_DEP_1)
	v_and_or_b32 v5, 0x8000, v7, v6
	v_and_b32_e32 v4, 0xffff, v4
	v_lshl_or_b32 v4, v5, 16, v4
	global_store_b32 v[2:3], v4, off
	global_load_b32 v6, v44, s[12:13] offset:4224
	v_add_nc_u32_e32 v4, 0x1000, v44
	ds_load_2addr_b32 v[4:5], v4 offset0:32 offset1:128
	s_wait_dscnt 0x0
	v_lshrrev_b32_e32 v7, 16, v4
	s_wait_loadcnt 0x0
	v_lshrrev_b32_e32 v8, 16, v6
	s_delay_alu instid0(VALU_DEP_1) | instskip(SKIP_1) | instid1(VALU_DEP_2)
	v_mul_f16_e32 v9, v7, v8
	v_mul_f16_e32 v8, v4, v8
	v_fmac_f16_e32 v9, v4, v6
	s_delay_alu instid0(VALU_DEP_2) | instskip(NEXT) | instid1(VALU_DEP_2)
	v_fma_f16 v4, v6, v7, -v8
	v_cvt_f32_f16_e32 v6, v9
	s_delay_alu instid0(VALU_DEP_2) | instskip(NEXT) | instid1(VALU_DEP_2)
	v_cvt_f32_f16_e32 v4, v4
	v_cvt_f64_f32_e32 v[6:7], v6
	s_delay_alu instid0(VALU_DEP_2) | instskip(NEXT) | instid1(VALU_DEP_2)
	v_cvt_f64_f32_e32 v[8:9], v4
	v_mul_f64_e32 v[6:7], s[8:9], v[6:7]
	s_delay_alu instid0(VALU_DEP_2) | instskip(NEXT) | instid1(VALU_DEP_2)
	v_mul_f64_e32 v[8:9], s[8:9], v[8:9]
	v_and_or_b32 v4, 0x1ff, v7, v6
	s_delay_alu instid0(VALU_DEP_2)
	v_and_or_b32 v8, 0x1ff, v9, v8
	v_lshrrev_b32_e32 v6, 8, v7
	v_bfe_u32 v10, v7, 20, 11
	v_lshrrev_b32_e32 v11, 8, v9
	v_cmp_ne_u32_e32 vcc_lo, 0, v4
	v_bfe_u32 v12, v9, 20, 11
	v_lshrrev_b32_e32 v7, 16, v7
	v_sub_nc_u32_e32 v13, 0x3f1, v10
	v_add_nc_u32_e32 v10, 0xfffffc10, v10
	s_wait_alu 0xfffd
	v_cndmask_b32_e64 v4, 0, 1, vcc_lo
	v_cmp_ne_u32_e32 vcc_lo, 0, v8
	v_lshrrev_b32_e32 v9, 16, v9
	s_delay_alu instid0(VALU_DEP_3) | instskip(SKIP_4) | instid1(VALU_DEP_3)
	v_and_or_b32 v4, 0xffe, v6, v4
	s_wait_alu 0xfffd
	v_cndmask_b32_e64 v8, 0, 1, vcc_lo
	v_sub_nc_u32_e32 v6, 0x3f1, v12
	v_add_nc_u32_e32 v12, 0xfffffc10, v12
	v_and_or_b32 v8, 0xffe, v11, v8
	v_med3_i32 v11, v13, 0, 13
	v_or_b32_e32 v13, 0x1000, v4
	v_med3_i32 v6, v6, 0, 13
	s_delay_alu instid0(VALU_DEP_4) | instskip(NEXT) | instid1(VALU_DEP_3)
	v_or_b32_e32 v14, 0x1000, v8
	v_lshrrev_b32_e32 v15, v11, v13
	s_delay_alu instid0(VALU_DEP_2) | instskip(NEXT) | instid1(VALU_DEP_2)
	v_lshrrev_b32_e32 v16, v6, v14
	v_lshlrev_b32_e32 v11, v11, v15
	s_delay_alu instid0(VALU_DEP_2) | instskip(NEXT) | instid1(VALU_DEP_2)
	v_lshlrev_b32_e32 v6, v6, v16
	v_cmp_ne_u32_e32 vcc_lo, v11, v13
	v_lshl_or_b32 v13, v10, 12, v4
	s_wait_alu 0xfffd
	v_cndmask_b32_e64 v11, 0, 1, vcc_lo
	v_cmp_ne_u32_e32 vcc_lo, v6, v14
	v_lshl_or_b32 v14, v12, 12, v8
	s_delay_alu instid0(VALU_DEP_3) | instskip(SKIP_3) | instid1(VALU_DEP_2)
	v_or_b32_e32 v11, v15, v11
	s_wait_alu 0xfffd
	v_cndmask_b32_e64 v6, 0, 1, vcc_lo
	v_cmp_gt_i32_e32 vcc_lo, 1, v10
	v_or_b32_e32 v6, v16, v6
	s_wait_alu 0xfffd
	v_cndmask_b32_e32 v11, v13, v11, vcc_lo
	v_cmp_gt_i32_e32 vcc_lo, 1, v12
	s_wait_alu 0xfffd
	s_delay_alu instid0(VALU_DEP_2) | instskip(SKIP_2) | instid1(VALU_DEP_3)
	v_dual_cndmask_b32 v6, v14, v6 :: v_dual_and_b32 v13, 7, v11
	v_cmp_ne_u32_e32 vcc_lo, 0, v4
	v_lshrrev_b32_e32 v11, 2, v11
	v_cmp_eq_u32_e64 s0, 3, v13
	s_delay_alu instid0(VALU_DEP_4)
	v_and_b32_e32 v14, 7, v6
	s_wait_alu 0xfffd
	v_cndmask_b32_e64 v4, 0, 1, vcc_lo
	v_cmp_ne_u32_e32 vcc_lo, 0, v8
	v_lshrrev_b32_e32 v6, 2, v6
	v_cmp_lt_i32_e64 s1, 5, v14
	v_cmp_eq_u32_e64 s2, 3, v14
	s_wait_alu 0xfffd
	v_cndmask_b32_e64 v8, 0, 1, vcc_lo
	v_cmp_lt_i32_e32 vcc_lo, 5, v13
	v_lshl_or_b32 v4, v4, 9, 0x7c00
	s_delay_alu instid0(VALU_DEP_3)
	v_lshl_or_b32 v8, v8, 9, 0x7c00
	s_or_b32 vcc_lo, s0, vcc_lo
	s_wait_alu 0xfffe
	v_add_co_ci_u32_e32 v11, vcc_lo, 0, v11, vcc_lo
	s_or_b32 vcc_lo, s2, s1
	s_wait_alu 0xfffe
	v_add_co_ci_u32_e32 v6, vcc_lo, 0, v6, vcc_lo
	v_cmp_gt_i32_e32 vcc_lo, 31, v10
	s_wait_alu 0xfffd
	v_cndmask_b32_e32 v11, 0x7c00, v11, vcc_lo
	v_cmp_gt_i32_e32 vcc_lo, 31, v12
	s_wait_alu 0xfffd
	v_cndmask_b32_e32 v6, 0x7c00, v6, vcc_lo
	v_cmp_eq_u32_e32 vcc_lo, 0x40f, v10
	s_wait_alu 0xfffd
	v_cndmask_b32_e32 v4, v11, v4, vcc_lo
	v_cmp_eq_u32_e32 vcc_lo, 0x40f, v12
	s_delay_alu instid0(VALU_DEP_2)
	v_and_or_b32 v4, 0x8000, v7, v4
	s_wait_alu 0xfffd
	v_cndmask_b32_e32 v6, v6, v8, vcc_lo
	v_add_co_u32 v2, vcc_lo, v2, s6
	s_wait_alu 0xfffd
	v_add_co_ci_u32_e32 v3, vcc_lo, s7, v3, vcc_lo
	s_delay_alu instid0(VALU_DEP_3) | instskip(SKIP_1) | instid1(VALU_DEP_1)
	v_and_or_b32 v6, 0x8000, v9, v6
	v_and_b32_e32 v4, 0xffff, v4
	v_lshl_or_b32 v4, v6, 16, v4
	v_lshrrev_b32_e32 v6, 16, v5
	global_store_b32 v[2:3], v4, off
	global_load_b32 v4, v44, s[12:13] offset:4608
	s_wait_loadcnt 0x0
	v_lshrrev_b32_e32 v7, 16, v4
	s_delay_alu instid0(VALU_DEP_1) | instskip(SKIP_1) | instid1(VALU_DEP_2)
	v_mul_f16_e32 v8, v6, v7
	v_mul_f16_e32 v7, v5, v7
	v_fmac_f16_e32 v8, v5, v4
	s_delay_alu instid0(VALU_DEP_2) | instskip(NEXT) | instid1(VALU_DEP_2)
	v_fma_f16 v4, v4, v6, -v7
	v_cvt_f32_f16_e32 v5, v8
	s_delay_alu instid0(VALU_DEP_2) | instskip(NEXT) | instid1(VALU_DEP_2)
	v_cvt_f32_f16_e32 v6, v4
	v_cvt_f64_f32_e32 v[4:5], v5
	s_delay_alu instid0(VALU_DEP_2) | instskip(NEXT) | instid1(VALU_DEP_2)
	v_cvt_f64_f32_e32 v[6:7], v6
	v_mul_f64_e32 v[4:5], s[8:9], v[4:5]
	s_delay_alu instid0(VALU_DEP_2) | instskip(NEXT) | instid1(VALU_DEP_2)
	v_mul_f64_e32 v[6:7], s[8:9], v[6:7]
	v_and_or_b32 v4, 0x1ff, v5, v4
	s_delay_alu instid0(VALU_DEP_2)
	v_and_or_b32 v6, 0x1ff, v7, v6
	v_lshrrev_b32_e32 v8, 8, v5
	v_bfe_u32 v10, v5, 20, 11
	v_bfe_u32 v11, v7, 20, 11
	v_cmp_ne_u32_e32 vcc_lo, 0, v4
	v_lshrrev_b32_e32 v9, 8, v7
	v_lshrrev_b32_e32 v7, 16, v7
	v_sub_nc_u32_e32 v12, 0x3f1, v10
	v_sub_nc_u32_e32 v13, 0x3f1, v11
	s_wait_alu 0xfffd
	v_cndmask_b32_e64 v4, 0, 1, vcc_lo
	v_cmp_ne_u32_e32 vcc_lo, 0, v6
	v_add_nc_u32_e32 v11, 0xfffffc10, v11
	s_delay_alu instid0(VALU_DEP_3)
	v_and_or_b32 v14, 0xffe, v8, v4
	s_wait_alu 0xfffd
	v_cndmask_b32_e64 v6, 0, 1, vcc_lo
	v_med3_i32 v4, v12, 0, 13
	v_med3_i32 v12, v13, 0, 13
	v_or_b32_e32 v13, 0x1000, v14
	s_delay_alu instid0(VALU_DEP_4) | instskip(SKIP_1) | instid1(VALU_DEP_3)
	v_and_or_b32 v6, 0xffe, v9, v6
	v_mad_co_u64_u32 v[8:9], null, s4, v239, 0
	v_lshrrev_b32_e32 v16, v4, v13
	s_delay_alu instid0(VALU_DEP_3) | instskip(NEXT) | instid1(VALU_DEP_2)
	v_or_b32_e32 v15, 0x1000, v6
	v_lshlrev_b32_e32 v18, v4, v16
	s_delay_alu instid0(VALU_DEP_2) | instskip(SKIP_1) | instid1(VALU_DEP_3)
	v_lshrrev_b32_e32 v17, v12, v15
	v_mov_b32_e32 v4, v9
	v_cmp_ne_u32_e32 vcc_lo, v18, v13
	s_delay_alu instid0(VALU_DEP_3) | instskip(SKIP_3) | instid1(VALU_DEP_3)
	v_lshlrev_b32_e32 v9, v12, v17
	v_add_nc_u32_e32 v12, 0xfffffc10, v10
	s_wait_alu 0xfffd
	v_cndmask_b32_e64 v13, 0, 1, vcc_lo
	v_cmp_ne_u32_e32 vcc_lo, v9, v15
	v_mad_co_u64_u32 v[9:10], null, s5, v239, v[4:5]
	v_lshl_or_b32 v4, v12, 12, v14
	s_delay_alu instid0(VALU_DEP_4)
	v_or_b32_e32 v10, v16, v13
	s_wait_alu 0xfffd
	v_cndmask_b32_e64 v15, 0, 1, vcc_lo
	v_cmp_gt_i32_e32 vcc_lo, 1, v12
	v_lshl_or_b32 v13, v11, 12, v6
	v_lshrrev_b32_e32 v5, 16, v5
	s_delay_alu instid0(VALU_DEP_4)
	v_or_b32_e32 v15, v17, v15
	s_wait_alu 0xfffd
	v_cndmask_b32_e32 v4, v4, v10, vcc_lo
	v_cmp_gt_i32_e32 vcc_lo, 1, v11
	s_wait_alu 0xfffd
	v_cndmask_b32_e32 v10, v13, v15, vcc_lo
	v_cmp_ne_u32_e32 vcc_lo, 0, v14
	v_and_b32_e32 v14, 7, v4
	v_lshrrev_b32_e32 v4, 2, v4
	s_delay_alu instid0(VALU_DEP_4)
	v_and_b32_e32 v15, 7, v10
	s_wait_alu 0xfffd
	v_cndmask_b32_e64 v13, 0, 1, vcc_lo
	v_cmp_ne_u32_e32 vcc_lo, 0, v6
	v_cmp_eq_u32_e64 s0, 3, v14
	v_lshrrev_b32_e32 v10, 2, v10
	v_cmp_lt_i32_e64 s1, 5, v15
	v_cmp_eq_u32_e64 s2, 3, v15
	s_wait_alu 0xfffd
	v_cndmask_b32_e64 v6, 0, 1, vcc_lo
	v_cmp_lt_i32_e32 vcc_lo, 5, v14
	v_lshl_or_b32 v13, v13, 9, 0x7c00
	s_delay_alu instid0(VALU_DEP_3)
	v_lshl_or_b32 v6, v6, 9, 0x7c00
	s_or_b32 vcc_lo, s0, vcc_lo
	s_wait_alu 0xfffe
	v_add_co_ci_u32_e32 v4, vcc_lo, 0, v4, vcc_lo
	s_or_b32 vcc_lo, s2, s1
	s_wait_alu 0xfffe
	v_add_co_ci_u32_e32 v10, vcc_lo, 0, v10, vcc_lo
	v_cmp_gt_i32_e32 vcc_lo, 31, v12
	s_wait_alu 0xfffd
	v_cndmask_b32_e32 v4, 0x7c00, v4, vcc_lo
	v_cmp_gt_i32_e32 vcc_lo, 31, v11
	s_wait_alu 0xfffd
	v_cndmask_b32_e32 v10, 0x7c00, v10, vcc_lo
	v_cmp_eq_u32_e32 vcc_lo, 0x40f, v12
	s_wait_alu 0xfffd
	v_cndmask_b32_e32 v4, v4, v13, vcc_lo
	v_cmp_eq_u32_e32 vcc_lo, 0x40f, v11
	s_wait_alu 0xfffd
	v_cndmask_b32_e32 v6, v10, v6, vcc_lo
	s_delay_alu instid0(VALU_DEP_3) | instskip(SKIP_1) | instid1(VALU_DEP_3)
	v_and_or_b32 v10, 0x8000, v5, v4
	v_lshlrev_b64_e32 v[4:5], 2, v[8:9]
	v_and_or_b32 v6, 0x8000, v7, v6
	s_delay_alu instid0(VALU_DEP_3) | instskip(NEXT) | instid1(VALU_DEP_3)
	v_and_b32_e32 v7, 0xffff, v10
	v_add_co_u32 v4, vcc_lo, v0, v4
	s_wait_alu 0xfffd
	s_delay_alu instid0(VALU_DEP_4) | instskip(NEXT) | instid1(VALU_DEP_3)
	v_add_co_ci_u32_e32 v5, vcc_lo, v1, v5, vcc_lo
	v_lshl_or_b32 v6, v6, 16, v7
	global_store_b32 v[4:5], v6, off
	global_load_b32 v6, v44, s[12:13] offset:4992
	v_add_nc_u32_e32 v4, 0x1200, v44
	ds_load_2addr_b32 v[4:5], v4 offset0:96 offset1:192
	s_wait_dscnt 0x0
	v_lshrrev_b32_e32 v7, 16, v4
	s_wait_loadcnt 0x0
	v_lshrrev_b32_e32 v8, 16, v6
	s_delay_alu instid0(VALU_DEP_1) | instskip(SKIP_1) | instid1(VALU_DEP_2)
	v_mul_f16_e32 v9, v7, v8
	v_mul_f16_e32 v8, v4, v8
	v_fmac_f16_e32 v9, v4, v6
	s_delay_alu instid0(VALU_DEP_2) | instskip(NEXT) | instid1(VALU_DEP_2)
	v_fma_f16 v4, v6, v7, -v8
	v_cvt_f32_f16_e32 v6, v9
	s_delay_alu instid0(VALU_DEP_2) | instskip(NEXT) | instid1(VALU_DEP_2)
	v_cvt_f32_f16_e32 v4, v4
	v_cvt_f64_f32_e32 v[6:7], v6
	s_delay_alu instid0(VALU_DEP_2) | instskip(NEXT) | instid1(VALU_DEP_2)
	v_cvt_f64_f32_e32 v[8:9], v4
	v_mul_f64_e32 v[6:7], s[8:9], v[6:7]
	s_delay_alu instid0(VALU_DEP_2) | instskip(NEXT) | instid1(VALU_DEP_2)
	v_mul_f64_e32 v[8:9], s[8:9], v[8:9]
	v_and_or_b32 v4, 0x1ff, v7, v6
	s_delay_alu instid0(VALU_DEP_2)
	v_and_or_b32 v8, 0x1ff, v9, v8
	v_lshrrev_b32_e32 v6, 8, v7
	v_bfe_u32 v10, v7, 20, 11
	v_lshrrev_b32_e32 v11, 8, v9
	v_cmp_ne_u32_e32 vcc_lo, 0, v4
	v_bfe_u32 v12, v9, 20, 11
	v_lshrrev_b32_e32 v7, 16, v7
	v_sub_nc_u32_e32 v13, 0x3f1, v10
	v_add_nc_u32_e32 v10, 0xfffffc10, v10
	s_wait_alu 0xfffd
	v_cndmask_b32_e64 v4, 0, 1, vcc_lo
	v_cmp_ne_u32_e32 vcc_lo, 0, v8
	v_lshrrev_b32_e32 v9, 16, v9
	s_delay_alu instid0(VALU_DEP_3) | instskip(SKIP_4) | instid1(VALU_DEP_3)
	v_and_or_b32 v4, 0xffe, v6, v4
	s_wait_alu 0xfffd
	v_cndmask_b32_e64 v8, 0, 1, vcc_lo
	v_sub_nc_u32_e32 v6, 0x3f1, v12
	v_add_nc_u32_e32 v12, 0xfffffc10, v12
	v_and_or_b32 v8, 0xffe, v11, v8
	v_med3_i32 v11, v13, 0, 13
	v_or_b32_e32 v13, 0x1000, v4
	v_med3_i32 v6, v6, 0, 13
	s_delay_alu instid0(VALU_DEP_4) | instskip(NEXT) | instid1(VALU_DEP_3)
	v_or_b32_e32 v14, 0x1000, v8
	v_lshrrev_b32_e32 v15, v11, v13
	s_delay_alu instid0(VALU_DEP_2) | instskip(NEXT) | instid1(VALU_DEP_2)
	v_lshrrev_b32_e32 v16, v6, v14
	v_lshlrev_b32_e32 v11, v11, v15
	s_delay_alu instid0(VALU_DEP_2) | instskip(NEXT) | instid1(VALU_DEP_2)
	v_lshlrev_b32_e32 v6, v6, v16
	v_cmp_ne_u32_e32 vcc_lo, v11, v13
	v_lshl_or_b32 v13, v10, 12, v4
	s_wait_alu 0xfffd
	v_cndmask_b32_e64 v11, 0, 1, vcc_lo
	v_cmp_ne_u32_e32 vcc_lo, v6, v14
	v_lshl_or_b32 v14, v12, 12, v8
	s_delay_alu instid0(VALU_DEP_3) | instskip(SKIP_3) | instid1(VALU_DEP_2)
	v_or_b32_e32 v11, v15, v11
	s_wait_alu 0xfffd
	v_cndmask_b32_e64 v6, 0, 1, vcc_lo
	v_cmp_gt_i32_e32 vcc_lo, 1, v10
	v_or_b32_e32 v6, v16, v6
	s_wait_alu 0xfffd
	v_cndmask_b32_e32 v11, v13, v11, vcc_lo
	v_cmp_gt_i32_e32 vcc_lo, 1, v12
	s_wait_alu 0xfffd
	s_delay_alu instid0(VALU_DEP_2) | instskip(SKIP_2) | instid1(VALU_DEP_3)
	v_dual_cndmask_b32 v6, v14, v6 :: v_dual_and_b32 v13, 7, v11
	v_cmp_ne_u32_e32 vcc_lo, 0, v4
	v_lshrrev_b32_e32 v11, 2, v11
	v_cmp_eq_u32_e64 s0, 3, v13
	s_delay_alu instid0(VALU_DEP_4)
	v_and_b32_e32 v14, 7, v6
	s_wait_alu 0xfffd
	v_cndmask_b32_e64 v4, 0, 1, vcc_lo
	v_cmp_ne_u32_e32 vcc_lo, 0, v8
	v_lshrrev_b32_e32 v6, 2, v6
	v_cmp_lt_i32_e64 s1, 5, v14
	v_cmp_eq_u32_e64 s2, 3, v14
	s_wait_alu 0xfffd
	v_cndmask_b32_e64 v8, 0, 1, vcc_lo
	v_cmp_lt_i32_e32 vcc_lo, 5, v13
	v_lshl_or_b32 v4, v4, 9, 0x7c00
	s_delay_alu instid0(VALU_DEP_3)
	v_lshl_or_b32 v8, v8, 9, 0x7c00
	s_or_b32 vcc_lo, s0, vcc_lo
	s_wait_alu 0xfffe
	v_add_co_ci_u32_e32 v11, vcc_lo, 0, v11, vcc_lo
	s_or_b32 vcc_lo, s2, s1
	s_wait_alu 0xfffe
	v_add_co_ci_u32_e32 v6, vcc_lo, 0, v6, vcc_lo
	v_cmp_gt_i32_e32 vcc_lo, 31, v10
	s_wait_alu 0xfffd
	v_cndmask_b32_e32 v11, 0x7c00, v11, vcc_lo
	v_cmp_gt_i32_e32 vcc_lo, 31, v12
	s_wait_alu 0xfffd
	v_cndmask_b32_e32 v6, 0x7c00, v6, vcc_lo
	v_cmp_eq_u32_e32 vcc_lo, 0x40f, v10
	s_wait_alu 0xfffd
	v_cndmask_b32_e32 v4, v11, v4, vcc_lo
	v_cmp_eq_u32_e32 vcc_lo, 0x40f, v12
	s_delay_alu instid0(VALU_DEP_2)
	v_and_or_b32 v4, 0x8000, v7, v4
	s_wait_alu 0xfffd
	v_cndmask_b32_e32 v6, v6, v8, vcc_lo
	v_add_co_u32 v2, vcc_lo, v2, s10
	s_wait_alu 0xfffd
	v_add_co_ci_u32_e32 v3, vcc_lo, s11, v3, vcc_lo
	s_delay_alu instid0(VALU_DEP_3) | instskip(SKIP_1) | instid1(VALU_DEP_1)
	v_and_or_b32 v6, 0x8000, v9, v6
	v_and_b32_e32 v4, 0xffff, v4
	v_lshl_or_b32 v4, v6, 16, v4
	v_lshrrev_b32_e32 v6, 16, v5
	global_store_b32 v[2:3], v4, off
	global_load_b32 v4, v44, s[12:13] offset:5376
	s_wait_loadcnt 0x0
	v_lshrrev_b32_e32 v7, 16, v4
	s_delay_alu instid0(VALU_DEP_1) | instskip(SKIP_1) | instid1(VALU_DEP_2)
	v_mul_f16_e32 v8, v6, v7
	v_mul_f16_e32 v7, v5, v7
	v_fmac_f16_e32 v8, v5, v4
	s_delay_alu instid0(VALU_DEP_2) | instskip(NEXT) | instid1(VALU_DEP_2)
	v_fma_f16 v4, v4, v6, -v7
	v_cvt_f32_f16_e32 v5, v8
	s_delay_alu instid0(VALU_DEP_2) | instskip(NEXT) | instid1(VALU_DEP_2)
	v_cvt_f32_f16_e32 v6, v4
	v_cvt_f64_f32_e32 v[4:5], v5
	s_delay_alu instid0(VALU_DEP_2) | instskip(NEXT) | instid1(VALU_DEP_2)
	v_cvt_f64_f32_e32 v[6:7], v6
	v_mul_f64_e32 v[4:5], s[8:9], v[4:5]
	s_delay_alu instid0(VALU_DEP_2) | instskip(NEXT) | instid1(VALU_DEP_2)
	v_mul_f64_e32 v[6:7], s[8:9], v[6:7]
	v_and_or_b32 v4, 0x1ff, v5, v4
	s_delay_alu instid0(VALU_DEP_2)
	v_and_or_b32 v6, 0x1ff, v7, v6
	v_lshrrev_b32_e32 v8, 8, v5
	v_bfe_u32 v9, v5, 20, 11
	v_lshrrev_b32_e32 v10, 8, v7
	v_cmp_ne_u32_e32 vcc_lo, 0, v4
	v_bfe_u32 v11, v7, 20, 11
	v_lshrrev_b32_e32 v5, 16, v5
	v_sub_nc_u32_e32 v12, 0x3f1, v9
	v_add_nc_u32_e32 v9, 0xfffffc10, v9
	s_wait_alu 0xfffd
	v_cndmask_b32_e64 v4, 0, 1, vcc_lo
	v_cmp_ne_u32_e32 vcc_lo, 0, v6
	v_lshrrev_b32_e32 v7, 16, v7
	s_delay_alu instid0(VALU_DEP_3) | instskip(SKIP_4) | instid1(VALU_DEP_3)
	v_and_or_b32 v4, 0xffe, v8, v4
	s_wait_alu 0xfffd
	v_cndmask_b32_e64 v6, 0, 1, vcc_lo
	v_sub_nc_u32_e32 v8, 0x3f1, v11
	v_add_nc_u32_e32 v11, 0xfffffc10, v11
	v_and_or_b32 v6, 0xffe, v10, v6
	v_med3_i32 v10, v12, 0, 13
	v_or_b32_e32 v12, 0x1000, v4
	v_med3_i32 v8, v8, 0, 13
	s_delay_alu instid0(VALU_DEP_4) | instskip(NEXT) | instid1(VALU_DEP_3)
	v_or_b32_e32 v13, 0x1000, v6
	v_lshrrev_b32_e32 v14, v10, v12
	s_delay_alu instid0(VALU_DEP_2) | instskip(NEXT) | instid1(VALU_DEP_2)
	v_lshrrev_b32_e32 v15, v8, v13
	v_lshlrev_b32_e32 v10, v10, v14
	s_delay_alu instid0(VALU_DEP_2) | instskip(NEXT) | instid1(VALU_DEP_2)
	v_lshlrev_b32_e32 v8, v8, v15
	v_cmp_ne_u32_e32 vcc_lo, v10, v12
	v_lshl_or_b32 v12, v9, 12, v4
	s_wait_alu 0xfffd
	v_cndmask_b32_e64 v10, 0, 1, vcc_lo
	v_cmp_ne_u32_e32 vcc_lo, v8, v13
	v_lshl_or_b32 v13, v11, 12, v6
	s_delay_alu instid0(VALU_DEP_3) | instskip(SKIP_3) | instid1(VALU_DEP_2)
	v_or_b32_e32 v10, v14, v10
	s_wait_alu 0xfffd
	v_cndmask_b32_e64 v8, 0, 1, vcc_lo
	v_cmp_gt_i32_e32 vcc_lo, 1, v9
	v_or_b32_e32 v8, v15, v8
	s_wait_alu 0xfffd
	v_cndmask_b32_e32 v10, v12, v10, vcc_lo
	v_cmp_gt_i32_e32 vcc_lo, 1, v11
	s_delay_alu instid0(VALU_DEP_2)
	v_and_b32_e32 v12, 7, v10
	s_wait_alu 0xfffd
	v_cndmask_b32_e32 v8, v13, v8, vcc_lo
	v_cmp_ne_u32_e32 vcc_lo, 0, v4
	v_lshrrev_b32_e32 v10, 2, v10
	v_cmp_eq_u32_e64 s0, 3, v12
	s_delay_alu instid0(VALU_DEP_4)
	v_and_b32_e32 v13, 7, v8
	s_wait_alu 0xfffd
	v_cndmask_b32_e64 v4, 0, 1, vcc_lo
	v_cmp_ne_u32_e32 vcc_lo, 0, v6
	v_lshrrev_b32_e32 v8, 2, v8
	v_cmp_lt_i32_e64 s1, 5, v13
	v_cmp_eq_u32_e64 s2, 3, v13
	s_wait_alu 0xfffd
	v_cndmask_b32_e64 v6, 0, 1, vcc_lo
	v_cmp_lt_i32_e32 vcc_lo, 5, v12
	v_lshl_or_b32 v4, v4, 9, 0x7c00
	s_delay_alu instid0(VALU_DEP_3)
	v_lshl_or_b32 v6, v6, 9, 0x7c00
	s_or_b32 vcc_lo, s0, vcc_lo
	s_wait_alu 0xfffe
	v_add_co_ci_u32_e32 v10, vcc_lo, 0, v10, vcc_lo
	s_or_b32 vcc_lo, s2, s1
	s_wait_alu 0xfffe
	v_add_co_ci_u32_e32 v8, vcc_lo, 0, v8, vcc_lo
	v_cmp_gt_i32_e32 vcc_lo, 31, v9
	s_wait_alu 0xfffd
	v_cndmask_b32_e32 v10, 0x7c00, v10, vcc_lo
	v_cmp_gt_i32_e32 vcc_lo, 31, v11
	s_wait_alu 0xfffd
	v_cndmask_b32_e32 v8, 0x7c00, v8, vcc_lo
	v_cmp_eq_u32_e32 vcc_lo, 0x40f, v9
	s_wait_alu 0xfffd
	v_cndmask_b32_e32 v4, v10, v4, vcc_lo
	v_cmp_eq_u32_e32 vcc_lo, 0x40f, v11
	s_delay_alu instid0(VALU_DEP_2)
	v_and_or_b32 v4, 0x8000, v5, v4
	s_wait_alu 0xfffd
	v_cndmask_b32_e32 v6, v8, v6, vcc_lo
	v_add_co_u32 v2, vcc_lo, v2, s6
	s_wait_alu 0xfffd
	v_add_co_ci_u32_e32 v3, vcc_lo, s7, v3, vcc_lo
	s_delay_alu instid0(VALU_DEP_3) | instskip(SKIP_1) | instid1(VALU_DEP_1)
	v_and_or_b32 v5, 0x8000, v7, v6
	v_and_b32_e32 v4, 0xffff, v4
	v_lshl_or_b32 v4, v5, 16, v4
	global_store_b32 v[2:3], v4, off
	global_load_b32 v6, v44, s[12:13] offset:5760
	v_add_nc_u32_e32 v4, 0x1600, v44
	ds_load_2addr_b32 v[4:5], v4 offset0:32 offset1:128
	s_wait_dscnt 0x0
	v_lshrrev_b32_e32 v7, 16, v4
	s_wait_loadcnt 0x0
	v_lshrrev_b32_e32 v8, 16, v6
	s_delay_alu instid0(VALU_DEP_1) | instskip(SKIP_1) | instid1(VALU_DEP_2)
	v_mul_f16_e32 v9, v7, v8
	v_mul_f16_e32 v8, v4, v8
	v_fmac_f16_e32 v9, v4, v6
	s_delay_alu instid0(VALU_DEP_2) | instskip(NEXT) | instid1(VALU_DEP_2)
	v_fma_f16 v4, v6, v7, -v8
	v_cvt_f32_f16_e32 v6, v9
	s_delay_alu instid0(VALU_DEP_2) | instskip(NEXT) | instid1(VALU_DEP_2)
	v_cvt_f32_f16_e32 v4, v4
	v_cvt_f64_f32_e32 v[6:7], v6
	s_delay_alu instid0(VALU_DEP_2) | instskip(NEXT) | instid1(VALU_DEP_2)
	v_cvt_f64_f32_e32 v[8:9], v4
	v_mul_f64_e32 v[6:7], s[8:9], v[6:7]
	s_delay_alu instid0(VALU_DEP_2) | instskip(NEXT) | instid1(VALU_DEP_2)
	v_mul_f64_e32 v[8:9], s[8:9], v[8:9]
	v_and_or_b32 v4, 0x1ff, v7, v6
	s_delay_alu instid0(VALU_DEP_2)
	v_and_or_b32 v8, 0x1ff, v9, v8
	v_lshrrev_b32_e32 v6, 8, v7
	v_bfe_u32 v10, v7, 20, 11
	v_lshrrev_b32_e32 v11, 8, v9
	v_cmp_ne_u32_e32 vcc_lo, 0, v4
	v_bfe_u32 v12, v9, 20, 11
	v_lshrrev_b32_e32 v7, 16, v7
	v_sub_nc_u32_e32 v13, 0x3f1, v10
	v_add_nc_u32_e32 v10, 0xfffffc10, v10
	s_wait_alu 0xfffd
	v_cndmask_b32_e64 v4, 0, 1, vcc_lo
	v_cmp_ne_u32_e32 vcc_lo, 0, v8
	v_lshrrev_b32_e32 v9, 16, v9
	s_delay_alu instid0(VALU_DEP_3) | instskip(SKIP_4) | instid1(VALU_DEP_3)
	v_and_or_b32 v4, 0xffe, v6, v4
	s_wait_alu 0xfffd
	v_cndmask_b32_e64 v8, 0, 1, vcc_lo
	v_sub_nc_u32_e32 v6, 0x3f1, v12
	v_add_nc_u32_e32 v12, 0xfffffc10, v12
	v_and_or_b32 v8, 0xffe, v11, v8
	v_med3_i32 v11, v13, 0, 13
	v_or_b32_e32 v13, 0x1000, v4
	v_med3_i32 v6, v6, 0, 13
	s_delay_alu instid0(VALU_DEP_4) | instskip(NEXT) | instid1(VALU_DEP_3)
	v_or_b32_e32 v14, 0x1000, v8
	v_lshrrev_b32_e32 v15, v11, v13
	s_delay_alu instid0(VALU_DEP_2) | instskip(NEXT) | instid1(VALU_DEP_2)
	v_lshrrev_b32_e32 v16, v6, v14
	v_lshlrev_b32_e32 v11, v11, v15
	s_delay_alu instid0(VALU_DEP_2) | instskip(NEXT) | instid1(VALU_DEP_2)
	v_lshlrev_b32_e32 v6, v6, v16
	v_cmp_ne_u32_e32 vcc_lo, v11, v13
	v_lshl_or_b32 v13, v10, 12, v4
	s_wait_alu 0xfffd
	v_cndmask_b32_e64 v11, 0, 1, vcc_lo
	v_cmp_ne_u32_e32 vcc_lo, v6, v14
	v_lshl_or_b32 v14, v12, 12, v8
	s_delay_alu instid0(VALU_DEP_3) | instskip(SKIP_3) | instid1(VALU_DEP_2)
	v_or_b32_e32 v11, v15, v11
	s_wait_alu 0xfffd
	v_cndmask_b32_e64 v6, 0, 1, vcc_lo
	v_cmp_gt_i32_e32 vcc_lo, 1, v10
	v_or_b32_e32 v6, v16, v6
	s_wait_alu 0xfffd
	v_cndmask_b32_e32 v11, v13, v11, vcc_lo
	v_cmp_gt_i32_e32 vcc_lo, 1, v12
	s_wait_alu 0xfffd
	s_delay_alu instid0(VALU_DEP_2) | instskip(SKIP_2) | instid1(VALU_DEP_3)
	v_dual_cndmask_b32 v6, v14, v6 :: v_dual_and_b32 v13, 7, v11
	v_cmp_ne_u32_e32 vcc_lo, 0, v4
	v_lshrrev_b32_e32 v11, 2, v11
	v_cmp_eq_u32_e64 s0, 3, v13
	s_delay_alu instid0(VALU_DEP_4)
	v_and_b32_e32 v14, 7, v6
	s_wait_alu 0xfffd
	v_cndmask_b32_e64 v4, 0, 1, vcc_lo
	v_cmp_ne_u32_e32 vcc_lo, 0, v8
	v_lshrrev_b32_e32 v6, 2, v6
	v_cmp_lt_i32_e64 s1, 5, v14
	v_cmp_eq_u32_e64 s2, 3, v14
	s_wait_alu 0xfffd
	v_cndmask_b32_e64 v8, 0, 1, vcc_lo
	v_cmp_lt_i32_e32 vcc_lo, 5, v13
	v_lshl_or_b32 v4, v4, 9, 0x7c00
	s_delay_alu instid0(VALU_DEP_3)
	v_lshl_or_b32 v8, v8, 9, 0x7c00
	s_or_b32 vcc_lo, s0, vcc_lo
	s_wait_alu 0xfffe
	v_add_co_ci_u32_e32 v11, vcc_lo, 0, v11, vcc_lo
	s_or_b32 vcc_lo, s2, s1
	s_wait_alu 0xfffe
	v_add_co_ci_u32_e32 v6, vcc_lo, 0, v6, vcc_lo
	v_cmp_gt_i32_e32 vcc_lo, 31, v10
	s_wait_alu 0xfffd
	v_cndmask_b32_e32 v11, 0x7c00, v11, vcc_lo
	v_cmp_gt_i32_e32 vcc_lo, 31, v12
	s_wait_alu 0xfffd
	v_cndmask_b32_e32 v6, 0x7c00, v6, vcc_lo
	v_cmp_eq_u32_e32 vcc_lo, 0x40f, v10
	s_wait_alu 0xfffd
	v_cndmask_b32_e32 v4, v11, v4, vcc_lo
	v_cmp_eq_u32_e32 vcc_lo, 0x40f, v12
	s_delay_alu instid0(VALU_DEP_2)
	v_and_or_b32 v4, 0x8000, v7, v4
	s_wait_alu 0xfffd
	v_cndmask_b32_e32 v6, v6, v8, vcc_lo
	v_add_co_u32 v2, vcc_lo, v2, s6
	s_wait_alu 0xfffd
	v_add_co_ci_u32_e32 v3, vcc_lo, s7, v3, vcc_lo
	s_delay_alu instid0(VALU_DEP_3) | instskip(SKIP_1) | instid1(VALU_DEP_1)
	v_and_or_b32 v6, 0x8000, v9, v6
	v_and_b32_e32 v4, 0xffff, v4
	v_lshl_or_b32 v4, v6, 16, v4
	global_store_b32 v[2:3], v4, off
	global_load_b32 v2, v44, s[12:13] offset:6144
	v_lshrrev_b32_e32 v3, 16, v5
	s_wait_loadcnt 0x0
	v_lshrrev_b32_e32 v4, 16, v2
	s_delay_alu instid0(VALU_DEP_1) | instskip(SKIP_1) | instid1(VALU_DEP_2)
	v_mul_f16_e32 v6, v3, v4
	v_mul_f16_e32 v4, v5, v4
	v_fmac_f16_e32 v6, v5, v2
	s_delay_alu instid0(VALU_DEP_2) | instskip(NEXT) | instid1(VALU_DEP_2)
	v_fma_f16 v2, v2, v3, -v4
	v_cvt_f32_f16_e32 v3, v6
	s_delay_alu instid0(VALU_DEP_2) | instskip(NEXT) | instid1(VALU_DEP_2)
	v_cvt_f32_f16_e32 v4, v2
	v_cvt_f64_f32_e32 v[2:3], v3
	s_delay_alu instid0(VALU_DEP_2) | instskip(NEXT) | instid1(VALU_DEP_2)
	v_cvt_f64_f32_e32 v[4:5], v4
	v_mul_f64_e32 v[2:3], s[8:9], v[2:3]
	s_delay_alu instid0(VALU_DEP_2) | instskip(NEXT) | instid1(VALU_DEP_2)
	v_mul_f64_e32 v[4:5], s[8:9], v[4:5]
	v_and_or_b32 v2, 0x1ff, v3, v2
	s_delay_alu instid0(VALU_DEP_2)
	v_and_or_b32 v4, 0x1ff, v5, v4
	v_lshrrev_b32_e32 v6, 8, v3
	v_bfe_u32 v8, v3, 20, 11
	v_bfe_u32 v9, v5, 20, 11
	v_cmp_ne_u32_e32 vcc_lo, 0, v2
	v_lshrrev_b32_e32 v7, 8, v5
	v_lshrrev_b32_e32 v5, 16, v5
	v_sub_nc_u32_e32 v10, 0x3f1, v8
	v_sub_nc_u32_e32 v11, 0x3f1, v9
	s_wait_alu 0xfffd
	v_cndmask_b32_e64 v2, 0, 1, vcc_lo
	v_cmp_ne_u32_e32 vcc_lo, 0, v4
	v_add_nc_u32_e32 v9, 0xfffffc10, v9
	s_delay_alu instid0(VALU_DEP_3)
	v_and_or_b32 v12, 0xffe, v6, v2
	s_wait_alu 0xfffd
	v_cndmask_b32_e64 v4, 0, 1, vcc_lo
	v_med3_i32 v2, v10, 0, 13
	v_med3_i32 v10, v11, 0, 13
	v_or_b32_e32 v11, 0x1000, v12
	s_delay_alu instid0(VALU_DEP_4) | instskip(SKIP_1) | instid1(VALU_DEP_3)
	v_and_or_b32 v4, 0xffe, v7, v4
	v_mad_co_u64_u32 v[6:7], null, s4, v238, 0
	v_lshrrev_b32_e32 v14, v2, v11
	s_delay_alu instid0(VALU_DEP_3) | instskip(NEXT) | instid1(VALU_DEP_2)
	v_or_b32_e32 v13, 0x1000, v4
	v_lshlrev_b32_e32 v16, v2, v14
	s_delay_alu instid0(VALU_DEP_2) | instskip(SKIP_1) | instid1(VALU_DEP_3)
	v_lshrrev_b32_e32 v15, v10, v13
	v_mov_b32_e32 v2, v7
	v_cmp_ne_u32_e32 vcc_lo, v16, v11
	s_delay_alu instid0(VALU_DEP_3) | instskip(SKIP_3) | instid1(VALU_DEP_3)
	v_lshlrev_b32_e32 v7, v10, v15
	v_add_nc_u32_e32 v10, 0xfffffc10, v8
	s_wait_alu 0xfffd
	v_cndmask_b32_e64 v11, 0, 1, vcc_lo
	v_cmp_ne_u32_e32 vcc_lo, v7, v13
	v_mad_co_u64_u32 v[7:8], null, s5, v238, v[2:3]
	v_lshl_or_b32 v2, v10, 12, v12
	s_delay_alu instid0(VALU_DEP_4)
	v_or_b32_e32 v8, v14, v11
	s_wait_alu 0xfffd
	v_cndmask_b32_e64 v13, 0, 1, vcc_lo
	v_cmp_gt_i32_e32 vcc_lo, 1, v10
	v_lshl_or_b32 v11, v9, 12, v4
	v_lshrrev_b32_e32 v3, 16, v3
	s_delay_alu instid0(VALU_DEP_4)
	v_or_b32_e32 v13, v15, v13
	s_wait_alu 0xfffd
	v_cndmask_b32_e32 v2, v2, v8, vcc_lo
	v_cmp_gt_i32_e32 vcc_lo, 1, v9
	s_wait_alu 0xfffd
	v_cndmask_b32_e32 v8, v11, v13, vcc_lo
	v_cmp_ne_u32_e32 vcc_lo, 0, v12
	v_and_b32_e32 v12, 7, v2
	v_lshrrev_b32_e32 v2, 2, v2
	s_delay_alu instid0(VALU_DEP_4)
	v_and_b32_e32 v13, 7, v8
	s_wait_alu 0xfffd
	v_cndmask_b32_e64 v11, 0, 1, vcc_lo
	v_cmp_ne_u32_e32 vcc_lo, 0, v4
	v_cmp_eq_u32_e64 s0, 3, v12
	v_lshrrev_b32_e32 v8, 2, v8
	v_cmp_lt_i32_e64 s1, 5, v13
	v_cmp_eq_u32_e64 s2, 3, v13
	s_wait_alu 0xfffd
	v_cndmask_b32_e64 v4, 0, 1, vcc_lo
	v_cmp_lt_i32_e32 vcc_lo, 5, v12
	v_lshl_or_b32 v11, v11, 9, 0x7c00
	s_delay_alu instid0(VALU_DEP_3)
	v_lshl_or_b32 v4, v4, 9, 0x7c00
	s_or_b32 vcc_lo, s0, vcc_lo
	s_wait_alu 0xfffe
	v_add_co_ci_u32_e32 v2, vcc_lo, 0, v2, vcc_lo
	s_or_b32 vcc_lo, s2, s1
	s_wait_alu 0xfffe
	v_add_co_ci_u32_e32 v8, vcc_lo, 0, v8, vcc_lo
	v_cmp_gt_i32_e32 vcc_lo, 31, v10
	s_wait_alu 0xfffd
	v_cndmask_b32_e32 v2, 0x7c00, v2, vcc_lo
	v_cmp_gt_i32_e32 vcc_lo, 31, v9
	s_wait_alu 0xfffd
	v_cndmask_b32_e32 v8, 0x7c00, v8, vcc_lo
	v_cmp_eq_u32_e32 vcc_lo, 0x40f, v10
	s_wait_alu 0xfffd
	v_cndmask_b32_e32 v2, v2, v11, vcc_lo
	v_cmp_eq_u32_e32 vcc_lo, 0x40f, v9
	s_delay_alu instid0(VALU_DEP_2) | instskip(SKIP_2) | instid1(VALU_DEP_1)
	v_and_or_b32 v2, 0x8000, v3, v2
	s_wait_alu 0xfffd
	v_cndmask_b32_e32 v4, v8, v4, vcc_lo
	v_and_or_b32 v4, 0x8000, v5, v4
	s_delay_alu instid0(VALU_DEP_3) | instskip(SKIP_1) | instid1(VALU_DEP_2)
	v_and_b32_e32 v5, 0xffff, v2
	v_lshlrev_b64_e32 v[2:3], 2, v[6:7]
	v_lshl_or_b32 v4, v4, 16, v5
	s_delay_alu instid0(VALU_DEP_2) | instskip(SKIP_1) | instid1(VALU_DEP_3)
	v_add_co_u32 v0, vcc_lo, v0, v2
	s_wait_alu 0xfffd
	v_add_co_ci_u32_e32 v1, vcc_lo, v1, v3, vcc_lo
	global_store_b32 v[0:1], v4, off
.LBB0_23:
	s_nop 0
	s_sendmsg sendmsg(MSG_DEALLOC_VGPRS)
	s_endpgm
	.section	.rodata,"a",@progbits
	.p2align	6, 0x0
	.amdhsa_kernel bluestein_single_fwd_len1632_dim1_half_op_CI_CI
		.amdhsa_group_segment_fixed_size 6528
		.amdhsa_private_segment_fixed_size 140
		.amdhsa_kernarg_size 104
		.amdhsa_user_sgpr_count 2
		.amdhsa_user_sgpr_dispatch_ptr 0
		.amdhsa_user_sgpr_queue_ptr 0
		.amdhsa_user_sgpr_kernarg_segment_ptr 1
		.amdhsa_user_sgpr_dispatch_id 0
		.amdhsa_user_sgpr_private_segment_size 0
		.amdhsa_wavefront_size32 1
		.amdhsa_uses_dynamic_stack 0
		.amdhsa_enable_private_segment 1
		.amdhsa_system_sgpr_workgroup_id_x 1
		.amdhsa_system_sgpr_workgroup_id_y 0
		.amdhsa_system_sgpr_workgroup_id_z 0
		.amdhsa_system_sgpr_workgroup_info 0
		.amdhsa_system_vgpr_workitem_id 0
		.amdhsa_next_free_vgpr 256
		.amdhsa_next_free_sgpr 16
		.amdhsa_reserve_vcc 1
		.amdhsa_float_round_mode_32 0
		.amdhsa_float_round_mode_16_64 0
		.amdhsa_float_denorm_mode_32 3
		.amdhsa_float_denorm_mode_16_64 3
		.amdhsa_fp16_overflow 0
		.amdhsa_workgroup_processor_mode 1
		.amdhsa_memory_ordered 1
		.amdhsa_forward_progress 0
		.amdhsa_round_robin_scheduling 0
		.amdhsa_exception_fp_ieee_invalid_op 0
		.amdhsa_exception_fp_denorm_src 0
		.amdhsa_exception_fp_ieee_div_zero 0
		.amdhsa_exception_fp_ieee_overflow 0
		.amdhsa_exception_fp_ieee_underflow 0
		.amdhsa_exception_fp_ieee_inexact 0
		.amdhsa_exception_int_div_zero 0
	.end_amdhsa_kernel
	.text
.Lfunc_end0:
	.size	bluestein_single_fwd_len1632_dim1_half_op_CI_CI, .Lfunc_end0-bluestein_single_fwd_len1632_dim1_half_op_CI_CI
                                        ; -- End function
	.section	.AMDGPU.csdata,"",@progbits
; Kernel info:
; codeLenInByte = 41088
; NumSgprs: 18
; NumVgprs: 256
; ScratchSize: 140
; MemoryBound: 0
; FloatMode: 240
; IeeeMode: 1
; LDSByteSize: 6528 bytes/workgroup (compile time only)
; SGPRBlocks: 2
; VGPRBlocks: 31
; NumSGPRsForWavesPerEU: 18
; NumVGPRsForWavesPerEU: 256
; Occupancy: 5
; WaveLimiterHint : 1
; COMPUTE_PGM_RSRC2:SCRATCH_EN: 1
; COMPUTE_PGM_RSRC2:USER_SGPR: 2
; COMPUTE_PGM_RSRC2:TRAP_HANDLER: 0
; COMPUTE_PGM_RSRC2:TGID_X_EN: 1
; COMPUTE_PGM_RSRC2:TGID_Y_EN: 0
; COMPUTE_PGM_RSRC2:TGID_Z_EN: 0
; COMPUTE_PGM_RSRC2:TIDIG_COMP_CNT: 0
	.text
	.p2alignl 7, 3214868480
	.fill 96, 4, 3214868480
	.type	__hip_cuid_3a69337d6b9ff5a6,@object ; @__hip_cuid_3a69337d6b9ff5a6
	.section	.bss,"aw",@nobits
	.globl	__hip_cuid_3a69337d6b9ff5a6
__hip_cuid_3a69337d6b9ff5a6:
	.byte	0                               ; 0x0
	.size	__hip_cuid_3a69337d6b9ff5a6, 1

	.ident	"AMD clang version 19.0.0git (https://github.com/RadeonOpenCompute/llvm-project roc-6.4.0 25133 c7fe45cf4b819c5991fe208aaa96edf142730f1d)"
	.section	".note.GNU-stack","",@progbits
	.addrsig
	.addrsig_sym __hip_cuid_3a69337d6b9ff5a6
	.amdgpu_metadata
---
amdhsa.kernels:
  - .args:
      - .actual_access:  read_only
        .address_space:  global
        .offset:         0
        .size:           8
        .value_kind:     global_buffer
      - .actual_access:  read_only
        .address_space:  global
        .offset:         8
        .size:           8
        .value_kind:     global_buffer
      - .actual_access:  read_only
        .address_space:  global
        .offset:         16
        .size:           8
        .value_kind:     global_buffer
      - .actual_access:  read_only
        .address_space:  global
        .offset:         24
        .size:           8
        .value_kind:     global_buffer
      - .actual_access:  read_only
        .address_space:  global
        .offset:         32
        .size:           8
        .value_kind:     global_buffer
      - .offset:         40
        .size:           8
        .value_kind:     by_value
      - .address_space:  global
        .offset:         48
        .size:           8
        .value_kind:     global_buffer
      - .address_space:  global
        .offset:         56
        .size:           8
        .value_kind:     global_buffer
      - .address_space:  global
        .offset:         64
        .size:           8
        .value_kind:     global_buffer
      - .address_space:  global
        .offset:         72
        .size:           8
        .value_kind:     global_buffer
      - .offset:         80
        .size:           4
        .value_kind:     by_value
      - .address_space:  global
        .offset:         88
        .size:           8
        .value_kind:     global_buffer
      - .address_space:  global
        .offset:         96
        .size:           8
        .value_kind:     global_buffer
    .group_segment_fixed_size: 6528
    .kernarg_segment_align: 8
    .kernarg_segment_size: 104
    .language:       OpenCL C
    .language_version:
      - 2
      - 0
    .max_flat_workgroup_size: 102
    .name:           bluestein_single_fwd_len1632_dim1_half_op_CI_CI
    .private_segment_fixed_size: 140
    .sgpr_count:     18
    .sgpr_spill_count: 0
    .symbol:         bluestein_single_fwd_len1632_dim1_half_op_CI_CI.kd
    .uniform_work_group_size: 1
    .uses_dynamic_stack: false
    .vgpr_count:     256
    .vgpr_spill_count: 34
    .wavefront_size: 32
    .workgroup_processor_mode: 1
amdhsa.target:   amdgcn-amd-amdhsa--gfx1201
amdhsa.version:
  - 1
  - 2
...

	.end_amdgpu_metadata
